;; amdgpu-corpus repo=ROCm/rocFFT kind=compiled arch=gfx1100 opt=O3
	.text
	.amdgcn_target "amdgcn-amd-amdhsa--gfx1100"
	.amdhsa_code_object_version 6
	.protected	bluestein_single_back_len408_dim1_dp_op_CI_CI ; -- Begin function bluestein_single_back_len408_dim1_dp_op_CI_CI
	.globl	bluestein_single_back_len408_dim1_dp_op_CI_CI
	.p2align	8
	.type	bluestein_single_back_len408_dim1_dp_op_CI_CI,@function
bluestein_single_back_len408_dim1_dp_op_CI_CI: ; @bluestein_single_back_len408_dim1_dp_op_CI_CI
; %bb.0:
	s_load_b128 s[16:19], s[0:1], 0x28
	v_mul_u32_u24_e32 v1, 0xf10, v0
	s_mov_b32 s2, exec_lo
	s_delay_alu instid0(VALU_DEP_1) | instskip(NEXT) | instid1(VALU_DEP_1)
	v_lshrrev_b32_e32 v1, 16, v1
	v_mad_u64_u32 v[140:141], null, s15, 3, v[1:2]
	v_mov_b32_e32 v141, 0
                                        ; kill: def $vgpr2 killed $sgpr0 killed $exec
	s_waitcnt lgkmcnt(0)
	s_delay_alu instid0(VALU_DEP_1)
	v_cmpx_gt_u64_e64 s[16:17], v[140:141]
	s_cbranch_execz .LBB0_15
; %bb.1:
	s_clause 0x1
	s_load_b128 s[4:7], s[0:1], 0x18
	s_load_b64 s[12:13], s[0:1], 0x0
	v_mul_lo_u16 v1, v1, 17
	v_mul_hi_u32 v71, 0xaaaaaaab, v140
	s_delay_alu instid0(VALU_DEP_2) | instskip(NEXT) | instid1(VALU_DEP_2)
	v_sub_nc_u16 v2, v0, v1
	v_lshrrev_b32_e32 v139, 1, v71
	s_delay_alu instid0(VALU_DEP_1)
	v_lshl_add_u32 v139, v139, 1, v139
	s_waitcnt lgkmcnt(0)
	s_load_b128 s[8:11], s[4:5], 0x0
	s_waitcnt lgkmcnt(0)
	v_mad_u64_u32 v[0:1], null, s10, v140, 0
	s_mul_i32 s3, s9, 24
	s_mul_hi_u32 s4, s8, 24
	s_mul_i32 s5, s9, 0x300
	s_add_i32 s3, s4, s3
	s_mul_hi_u32 s10, s8, 0x300
	s_mul_i32 s16, s8, 0x300
	s_delay_alu instid0(VALU_DEP_1) | instskip(SKIP_2) | instid1(VALU_DEP_2)
	v_mad_u64_u32 v[9:10], null, s11, v140, v[1:2]
	v_and_b32_e32 v214, 0xffff, v2
	s_add_i32 s10, s10, s5
	v_mov_b32_e32 v1, v9
	s_delay_alu instid0(VALU_DEP_2) | instskip(SKIP_3) | instid1(VALU_DEP_4)
	v_or_b32_e32 v13, 0x60, v214
	v_mad_u64_u32 v[3:4], null, s8, v214, 0
	v_or_b32_e32 v14, 0xc0, v214
	v_or_b32_e32 v56, 0x180, v214
	v_mad_u64_u32 v[5:6], null, s8, v13, 0
	v_lshlrev_b32_e32 v167, 4, v214
	s_delay_alu instid0(VALU_DEP_4) | instskip(NEXT) | instid1(VALU_DEP_4)
	v_mad_u64_u32 v[7:8], null, s8, v14, 0
	v_mad_u64_u32 v[47:48], null, s8, v56, 0
	v_or_b32_e32 v55, 0x120, v214
	v_mad_u64_u32 v[10:11], null, s9, v214, v[4:5]
	v_mov_b32_e32 v4, v6
	v_lshlrev_b64 v[0:1], 4, v[0:1]
	s_delay_alu instid0(VALU_DEP_4) | instskip(SKIP_1) | instid1(VALU_DEP_4)
	v_mad_u64_u32 v[43:44], null, s8, v55, 0
	v_dual_mov_b32 v6, v8 :: v_dual_lshlrev_b32 v57, 4, v55
	v_mad_u64_u32 v[11:12], null, s9, v13, v[4:5]
	v_dual_mov_b32 v4, v10 :: v_dual_mov_b32 v37, v48
	v_add_co_u32 v51, vcc_lo, s18, v0
	s_delay_alu instid0(VALU_DEP_4) | instskip(NEXT) | instid1(VALU_DEP_3)
	v_mad_u64_u32 v[9:10], null, s9, v14, v[6:7]
	v_lshlrev_b64 v[3:4], 4, v[3:4]
	v_add_co_ci_u32_e32 v52, vcc_lo, s19, v1, vcc_lo
	v_add_co_u32 v53, s2, s12, v167
	v_mov_b32_e32 v8, v44
	s_delay_alu instid0(VALU_DEP_4)
	v_add_co_u32 v0, vcc_lo, v51, v3
	v_add_co_ci_u32_e64 v54, null, s13, 0, s2
	s_mul_i32 s2, s8, 24
	v_add_co_ci_u32_e32 v1, vcc_lo, v52, v4, vcc_lo
	s_lshl_b64 s[14:15], s[2:3], 4
	v_mad_u64_u32 v[44:45], null, s9, v55, v[8:9]
	v_mov_b32_e32 v8, v9
	v_add_co_u32 v9, vcc_lo, v0, s14
	v_mov_b32_e32 v6, v11
	v_add_co_ci_u32_e32 v10, vcc_lo, s15, v1, vcc_lo
	s_delay_alu instid0(VALU_DEP_3) | instskip(NEXT) | instid1(VALU_DEP_3)
	v_add_co_u32 v11, vcc_lo, v9, s14
	v_lshlrev_b64 v[3:4], 4, v[5:6]
	s_delay_alu instid0(VALU_DEP_3) | instskip(NEXT) | instid1(VALU_DEP_3)
	v_add_co_ci_u32_e32 v12, vcc_lo, s15, v10, vcc_lo
	v_add_co_u32 v15, vcc_lo, v11, s14
	v_lshlrev_b64 v[5:6], 4, v[7:8]
	s_delay_alu instid0(VALU_DEP_3) | instskip(SKIP_3) | instid1(VALU_DEP_4)
	v_add_co_ci_u32_e32 v16, vcc_lo, s15, v12, vcc_lo
	v_add_co_u32 v19, vcc_lo, v51, v3
	v_add_co_ci_u32_e32 v20, vcc_lo, v52, v4, vcc_lo
	v_add_co_u32 v23, vcc_lo, v15, s16
	;; [unrolled: 2-line block ×3, first 2 shown]
	v_add_co_ci_u32_e32 v36, vcc_lo, v52, v6, vcc_lo
	s_delay_alu instid0(VALU_DEP_4) | instskip(NEXT) | instid1(VALU_DEP_4)
	v_add_co_u32 v27, vcc_lo, v23, s14
	v_add_co_ci_u32_e32 v28, vcc_lo, s15, v24, vcc_lo
	v_mad_u64_u32 v[45:46], null, s9, v56, v[37:38]
	s_clause 0x5
	global_load_b128 v[208:211], v167, s[12:13]
	global_load_b128 v[204:207], v167, s[12:13] offset:384
	global_load_b128 v[200:203], v167, s[12:13] offset:768
	;; [unrolled: 1-line block ×5, first 2 shown]
	s_clause 0x1
	scratch_store_b32 off, v13, off offset:156
	scratch_store_b32 off, v14, off offset:160
	s_clause 0x1
	global_load_b128 v[3:6], v[0:1], off
	global_load_b128 v[7:10], v[9:10], off
	v_add_co_u32 v0, vcc_lo, v27, s14
	v_add_co_ci_u32_e32 v1, vcc_lo, s15, v28, vcc_lo
	s_clause 0x3
	global_load_b128 v[11:14], v[11:12], off
	global_load_b128 v[15:18], v[15:16], off
	;; [unrolled: 1-line block ×6, first 2 shown]
	v_add_co_u32 v0, vcc_lo, v0, s16
	v_mov_b32_e32 v48, v45
	v_add_co_ci_u32_e32 v1, vcc_lo, s10, v1, vcc_lo
	v_lshlrev_b64 v[49:50], 4, v[43:44]
	s_clause 0x1
	global_load_b128 v[196:199], v167, s[12:13] offset:2304
	global_load_b128 v[176:179], v167, s[12:13] offset:2688
	global_load_b128 v[35:38], v[35:36], off
	global_load_b128 v[39:42], v[0:1], off
	v_add_co_u32 v0, vcc_lo, v0, s14
	v_lshlrev_b64 v[47:48], 4, v[47:48]
	v_add_co_ci_u32_e32 v1, vcc_lo, s15, v1, vcc_lo
	v_add_co_u32 v49, vcc_lo, v51, v49
	v_add_co_ci_u32_e32 v50, vcc_lo, v52, v50, vcc_lo
	s_delay_alu instid0(VALU_DEP_4)
	v_add_co_u32 v51, vcc_lo, v51, v47
	v_add_co_ci_u32_e32 v52, vcc_lo, v52, v48, vcc_lo
	v_add_co_u32 v67, vcc_lo, 0x1000, v53
	v_add_co_ci_u32_e32 v68, vcc_lo, 0, v54, vcc_lo
	s_clause 0x1
	global_load_b128 v[172:175], v167, s[12:13] offset:3072
	global_load_b128 v[168:171], v167, s[12:13] offset:3456
	global_load_b128 v[43:46], v[0:1], off
	v_add_co_u32 v0, vcc_lo, v0, s14
	v_add_co_ci_u32_e32 v1, vcc_lo, s15, v1, vcc_lo
	s_clause 0x2
	scratch_store_b32 off, v55, off offset:164
	scratch_store_b32 off, v56, off offset:168
	;; [unrolled: 1-line block ×3, first 2 shown]
	v_add_co_u32 v59, vcc_lo, v0, s16
	v_add_co_ci_u32_e32 v60, vcc_lo, s10, v1, vcc_lo
	v_lshlrev_b32_e32 v55, 4, v56
	s_delay_alu instid0(VALU_DEP_3) | instskip(NEXT) | instid1(VALU_DEP_3)
	v_add_co_u32 v63, vcc_lo, v59, s14
	v_add_co_ci_u32_e32 v64, vcc_lo, s15, v60, vcc_lo
	scratch_store_b64 off, v[53:54], off offset:148 ; 8-byte Folded Spill
	global_load_b128 v[47:50], v[49:50], off
	global_load_b128 v[157:160], v57, s[12:13]
	global_load_b128 v[51:54], v[51:52], off
	global_load_b128 v[161:164], v[67:68], off offset:128
	scratch_store_b32 off, v55, off offset:444 ; 4-byte Folded Spill
	s_clause 0x1
	global_load_b128 v[141:144], v55, s[12:13]
	global_load_b128 v[180:183], v167, s[12:13] offset:3840
	global_load_b128 v[55:58], v[0:1], off
	v_add_co_u32 v0, vcc_lo, v63, s14
	v_add_co_ci_u32_e32 v1, vcc_lo, s15, v64, vcc_lo
	global_load_b128 v[59:62], v[59:60], off
	global_load_b128 v[153:156], v[67:68], off offset:896
	global_load_b128 v[63:66], v[63:64], off
	global_load_b128 v[149:152], v[67:68], off offset:1280
	scratch_store_b64 off, v[67:68], off offset:132 ; 8-byte Folded Spill
	global_load_b128 v[145:148], v[67:68], off offset:1664
	global_load_b128 v[67:70], v[0:1], off
	s_load_b64 s[10:11], s[0:1], 0x38
	s_load_b128 s[4:7], s[6:7], 0x0
	v_cmp_gt_u16_e32 vcc_lo, 7, v2
	s_waitcnt vmcnt(33)
	scratch_store_b128 off, v[208:211], off offset:428 ; 16-byte Folded Spill
	s_waitcnt vmcnt(32)
	scratch_store_b128 off, v[204:207], off offset:412 ; 16-byte Folded Spill
	;; [unrolled: 2-line block ×6, first 2 shown]
	s_waitcnt vmcnt(27)
	v_mul_f64 v[71:72], v[5:6], v[210:211]
	v_mul_f64 v[73:74], v[3:4], v[210:211]
	s_waitcnt vmcnt(26)
	v_mul_f64 v[89:90], v[9:10], v[206:207]
	v_mul_f64 v[91:92], v[7:8], v[206:207]
	;; [unrolled: 3-line block ×8, first 2 shown]
	s_clause 0x1
	scratch_store_b128 off, v[196:199], off offset:380
	scratch_store_b128 off, v[176:179], off offset:300
	s_waitcnt vmcnt(15)
	v_mul_f64 v[79:80], v[37:38], v[174:175]
	v_mul_f64 v[81:82], v[35:36], v[174:175]
	s_waitcnt vmcnt(14)
	v_mul_f64 v[113:114], v[41:42], v[170:171]
	v_mul_f64 v[115:116], v[39:40], v[170:171]
	s_clause 0x1
	scratch_store_b128 off, v[168:171], off offset:268
	scratch_store_b128 off, v[172:175], off offset:284
	v_fma_f64 v[3:4], v[3:4], v[208:209], v[71:72]
	v_fma_f64 v[5:6], v[5:6], v[208:209], -v[73:74]
	v_fma_f64 v[7:8], v[7:8], v[204:205], v[89:90]
	v_fma_f64 v[9:10], v[9:10], v[204:205], -v[91:92]
	;; [unrolled: 2-line block ×6, first 2 shown]
	s_waitcnt vmcnt(11)
	v_mul_f64 v[83:84], v[49:50], v[159:160]
	v_mul_f64 v[85:86], v[47:48], v[159:160]
	v_fma_f64 v[27:28], v[27:28], v[196:197], v[105:106]
	s_waitcnt vmcnt(8)
	v_mul_f64 v[87:88], v[53:54], v[143:144]
	s_waitcnt vmcnt(7)
	v_mul_f64 v[117:118], v[45:46], v[182:183]
	v_mul_f64 v[119:120], v[43:44], v[182:183]
	s_waitcnt vmcnt(6)
	v_mul_f64 v[121:122], v[57:58], v[163:164]
	v_mul_f64 v[123:124], v[55:56], v[163:164]
	;; [unrolled: 1-line block ×3, first 2 shown]
	v_fma_f64 v[29:30], v[29:30], v[196:197], -v[107:108]
	s_waitcnt vmcnt(4)
	v_mul_f64 v[125:126], v[61:62], v[155:156]
	v_mul_f64 v[127:128], v[59:60], v[155:156]
	s_waitcnt vmcnt(2)
	v_mul_f64 v[129:130], v[65:66], v[151:152]
	v_mul_f64 v[131:132], v[63:64], v[151:152]
	;; [unrolled: 3-line block ×3, first 2 shown]
	v_fma_f64 v[31:32], v[31:32], v[176:177], v[109:110]
	v_fma_f64 v[33:34], v[33:34], v[176:177], -v[111:112]
	v_fma_f64 v[35:36], v[35:36], v[172:173], v[79:80]
	v_fma_f64 v[37:38], v[37:38], v[172:173], -v[81:82]
	;; [unrolled: 2-line block ×3, first 2 shown]
	v_mov_b32_e32 v71, v140
	s_clause 0x4
	scratch_store_b128 off, v[141:144], off offset:172
	scratch_store_b128 off, v[161:164], off offset:252
	;; [unrolled: 1-line block ×4, first 2 shown]
	scratch_store_b64 off, v[71:72], off offset:140
	v_sub_nc_u32_e32 v71, v140, v139
	s_clause 0x2
	scratch_store_b128 off, v[180:183], off offset:316
	scratch_store_b128 off, v[149:152], off offset:204
	;; [unrolled: 1-line block ×3, first 2 shown]
	v_mul_u32_u24_e32 v218, 0x198, v71
	v_fma_f64 v[47:48], v[47:48], v[157:158], v[83:84]
	v_fma_f64 v[49:50], v[49:50], v[157:158], -v[85:86]
	s_delay_alu instid0(VALU_DEP_3)
	v_lshlrev_b32_e32 v72, 4, v218
	v_fma_f64 v[51:52], v[51:52], v[141:142], v[87:88]
	v_fma_f64 v[43:44], v[43:44], v[180:181], v[117:118]
	v_fma_f64 v[45:46], v[45:46], v[180:181], -v[119:120]
	v_fma_f64 v[55:56], v[55:56], v[161:162], v[121:122]
	v_fma_f64 v[57:58], v[57:58], v[161:162], -v[123:124]
	v_fma_f64 v[53:54], v[53:54], v[141:142], -v[137:138]
	v_add_nc_u32_e32 v164, v167, v72
	v_fma_f64 v[59:60], v[59:60], v[153:154], v[125:126]
	v_fma_f64 v[61:62], v[61:62], v[153:154], -v[127:128]
	v_fma_f64 v[63:64], v[63:64], v[149:150], v[129:130]
	v_fma_f64 v[65:66], v[65:66], v[149:150], -v[131:132]
	;; [unrolled: 2-line block ×3, first 2 shown]
	ds_store_b128 v164, v[3:6]
	ds_store_b128 v164, v[7:10] offset:384
	ds_store_b128 v164, v[11:14] offset:768
	;; [unrolled: 1-line block ×16, first 2 shown]
	s_and_saveexec_b32 s3, vcc_lo
	s_cbranch_execz .LBB0_3
; %bb.2:
	scratch_load_b64 v[76:77], off, off offset:148 ; 8-byte Folded Reload
	v_mad_u64_u32 v[24:25], null, 0xffffea90, s8, v[0:1]
	s_mul_i32 s2, s9, 0xffffea90
	s_waitcnt vmcnt(0)
	s_clause 0x1
	global_load_b128 v[0:3], v[76:77], off offset:272
	global_load_b128 v[4:7], v[76:77], off offset:656
	s_sub_i32 s2, s2, s8
	s_clause 0x1
	global_load_b128 v[8:11], v[76:77], off offset:1040
	global_load_b128 v[12:15], v[76:77], off offset:1424
	v_add_nc_u32_e32 v25, s2, v25
	v_add_co_u32 v28, s2, v24, s14
	s_clause 0x1
	global_load_b128 v[16:19], v[76:77], off offset:1808
	global_load_b128 v[20:23], v[76:77], off offset:2192
	v_add_co_ci_u32_e64 v29, s2, s15, v25, s2
	v_add_co_u32 v32, s2, v28, s14
	global_load_b128 v[24:27], v[24:25], off
	v_add_co_ci_u32_e64 v33, s2, s15, v29, s2
	v_add_co_u32 v36, s2, v32, s14
	global_load_b128 v[28:31], v[28:29], off
	;; [unrolled: 3-line block ×3, first 2 shown]
	v_add_co_ci_u32_e64 v41, s2, s15, v37, s2
	v_add_co_u32 v44, s2, v40, s14
	s_delay_alu instid0(VALU_DEP_1) | instskip(NEXT) | instid1(VALU_DEP_2)
	v_add_co_ci_u32_e64 v45, s2, s15, v41, s2
	v_add_co_u32 v48, s2, v44, s14
	s_delay_alu instid0(VALU_DEP_1) | instskip(NEXT) | instid1(VALU_DEP_2)
	;; [unrolled: 3-line block ×3, first 2 shown]
	v_add_co_ci_u32_e64 v57, s2, s15, v49, s2
	v_add_co_u32 v64, s2, v56, s14
	global_load_b128 v[36:39], v[36:37], off
	global_load_b128 v[40:43], v[40:41], off
	;; [unrolled: 1-line block ×5, first 2 shown]
	v_add_co_ci_u32_e64 v65, s2, s15, v57, s2
	v_add_co_u32 v68, s2, v64, s14
	s_clause 0x1
	global_load_b128 v[56:59], v[76:77], off offset:2576
	global_load_b128 v[60:63], v[76:77], off offset:2960
	v_add_co_ci_u32_e64 v69, s2, s15, v65, s2
	v_add_co_u32 v80, s2, v68, s14
	global_load_b128 v[64:67], v[64:65], off
	v_add_co_ci_u32_e64 v81, s2, s15, v69, s2
	v_add_co_u32 v84, s2, v80, s14
	global_load_b128 v[68:71], v[68:69], off
	v_add_co_ci_u32_e64 v85, s2, s15, v81, s2
	v_add_co_u32 v96, s2, v84, s14
	s_clause 0x1
	global_load_b128 v[72:75], v[76:77], off offset:3344
	global_load_b128 v[76:79], v[76:77], off offset:3728
	v_add_co_ci_u32_e64 v97, s2, s15, v85, s2
	global_load_b128 v[80:83], v[80:81], off
	global_load_b128 v[84:87], v[84:85], off
	scratch_load_b64 v[128:129], off, off offset:132 ; 8-byte Folded Reload
	v_add_co_u32 v104, s2, v96, s14
	s_delay_alu instid0(VALU_DEP_1)
	v_add_co_ci_u32_e64 v105, s2, s15, v97, s2
	s_waitcnt vmcnt(0)
	s_clause 0x1
	global_load_b128 v[88:91], v[128:129], off offset:16
	global_load_b128 v[92:95], v[128:129], off offset:400
	global_load_b128 v[96:99], v[96:97], off
	global_load_b128 v[100:103], v[104:105], off
	v_add_co_u32 v112, s2, v104, s14
	s_delay_alu instid0(VALU_DEP_1) | instskip(SKIP_4) | instid1(VALU_DEP_1)
	v_add_co_ci_u32_e64 v113, s2, s15, v105, s2
	s_clause 0x1
	global_load_b128 v[104:107], v[128:129], off offset:784
	global_load_b128 v[108:111], v[128:129], off offset:1168
	v_add_co_u32 v120, s2, v112, s14
	v_add_co_ci_u32_e64 v121, s2, s15, v113, s2
	global_load_b128 v[112:115], v[112:113], off
	v_add_co_u32 v132, s2, v120, s14
	s_delay_alu instid0(VALU_DEP_1)
	v_add_co_ci_u32_e64 v133, s2, s15, v121, s2
	global_load_b128 v[116:119], v[128:129], off offset:1552
	global_load_b128 v[120:123], v[120:121], off
	s_clause 0x1
	global_load_b128 v[124:127], v[128:129], off offset:1936
	global_load_b128 v[128:131], v[128:129], off offset:2320
	global_load_b128 v[132:135], v[132:133], off
	v_mul_f64 v[136:137], v[26:27], v[2:3]
	v_mul_f64 v[2:3], v[24:25], v[2:3]
	;; [unrolled: 1-line block ×20, first 2 shown]
	v_fma_f64 v[22:23], v[24:25], v[0:1], v[136:137]
	v_fma_f64 v[24:25], v[26:27], v[0:1], -v[2:3]
	v_fma_f64 v[0:1], v[28:29], v[4:5], v[138:139]
	v_fma_f64 v[2:3], v[30:31], v[4:5], -v[6:7]
	;; [unrolled: 2-line block ×10, first 2 shown]
	s_waitcnt vmcnt(11)
	v_mul_f64 v[158:159], v[82:83], v[90:91]
	v_mul_f64 v[90:91], v[80:81], v[90:91]
	s_waitcnt vmcnt(10)
	v_mul_f64 v[160:161], v[86:87], v[94:95]
	v_mul_f64 v[94:95], v[84:85], v[94:95]
	;; [unrolled: 3-line block ×7, first 2 shown]
	v_fma_f64 v[42:43], v[80:81], v[88:89], v[158:159]
	v_fma_f64 v[44:45], v[82:83], v[88:89], -v[90:91]
	v_fma_f64 v[46:47], v[84:85], v[92:93], v[160:161]
	v_fma_f64 v[48:49], v[86:87], v[92:93], -v[94:95]
	;; [unrolled: 2-line block ×7, first 2 shown]
	ds_store_b128 v164, v[22:25] offset:272
	ds_store_b128 v164, v[0:3] offset:656
	;; [unrolled: 1-line block ×17, first 2 shown]
.LBB0_3:
	s_or_b32 exec_lo, exec_lo, s3
	s_waitcnt lgkmcnt(0)
	s_waitcnt_vscnt null, 0x0
	s_barrier
	buffer_gl0_inv
	ds_load_b128 v[56:59], v164
	ds_load_b128 v[64:67], v164 offset:384
	ds_load_b128 v[52:55], v164 offset:768
	;; [unrolled: 1-line block ×16, first 2 shown]
	s_load_b64 s[0:1], s[0:1], 0x8
                                        ; implicit-def: $vgpr136_vgpr137
                                        ; implicit-def: $vgpr140_vgpr141
                                        ; implicit-def: $vgpr152_vgpr153
                                        ; implicit-def: $vgpr160_vgpr161
                                        ; implicit-def: $vgpr168_vgpr169
                                        ; implicit-def: $vgpr172_vgpr173
                                        ; implicit-def: $vgpr156_vgpr157
                                        ; implicit-def: $vgpr132_vgpr133
                                        ; implicit-def: $vgpr128_vgpr129
                                        ; implicit-def: $vgpr124_vgpr125
                                        ; implicit-def: $vgpr120_vgpr121
                                        ; implicit-def: $vgpr116_vgpr117
                                        ; implicit-def: $vgpr112_vgpr113
                                        ; implicit-def: $vgpr78_vgpr79
                                        ; implicit-def: $vgpr148_vgpr149
                                        ; implicit-def: $vgpr144_vgpr145
                                        ; implicit-def: $vgpr108_vgpr109
	s_and_saveexec_b32 s2, vcc_lo
	s_cbranch_execz .LBB0_5
; %bb.4:
	ds_load_b128 v[108:111], v164 offset:272
	ds_load_b128 v[136:139], v164 offset:656
	;; [unrolled: 1-line block ×17, first 2 shown]
.LBB0_5:
	s_or_b32 exec_lo, exec_lo, s2
	s_waitcnt lgkmcnt(0)
	v_add_f64 v[0:1], v[56:57], v[64:65]
	v_add_f64 v[2:3], v[58:59], v[66:67]
	s_mov_b32 s44, 0x5d8e7cdc
	s_mov_b32 s48, 0x2a9d6da3
	;; [unrolled: 1-line block ×36, first 2 shown]
	v_add_f64 v[0:1], v[0:1], v[52:53]
	v_add_f64 v[2:3], v[2:3], v[54:55]
	s_mov_b32 s35, 0x3feca52d
	s_mov_b32 s34, s54
	;; [unrolled: 1-line block ×12, first 2 shown]
	v_add_f64 v[246:247], v[128:129], v[78:79]
	v_add_f64 v[248:249], v[130:131], v[80:81]
	;; [unrolled: 1-line block ×4, first 2 shown]
	v_add_co_u32 v166, null, v214, 17
	v_add_f64 v[0:1], v[0:1], v[44:45]
	v_add_f64 v[2:3], v[2:3], v[46:47]
	s_delay_alu instid0(VALU_DEP_2) | instskip(NEXT) | instid1(VALU_DEP_2)
	v_add_f64 v[0:1], v[0:1], v[36:37]
	v_add_f64 v[2:3], v[2:3], v[38:39]
	s_delay_alu instid0(VALU_DEP_2) | instskip(NEXT) | instid1(VALU_DEP_2)
	;; [unrolled: 3-line block ×13, first 2 shown]
	v_add_f64 v[0:1], v[0:1], v[68:69]
	v_add_f64 v[2:3], v[2:3], v[70:71]
	scratch_store_b128 off, v[0:3], off offset:468 ; 16-byte Folded Spill
	v_add_f64 v[0:1], v[64:65], v[68:69]
	v_add_f64 v[64:65], v[64:65], -v[68:69]
	v_add_f64 v[2:3], v[66:67], v[70:71]
	v_add_f64 v[66:67], v[66:67], -v[70:71]
	s_delay_alu instid0(VALU_DEP_3)
	v_mul_f64 v[72:73], v[64:65], s[44:45]
	v_mul_f64 v[84:85], v[64:65], s[48:49]
	;; [unrolled: 1-line block ×16, first 2 shown]
	v_fma_f64 v[74:75], v[2:3], s[8:9], v[72:73]
	v_fma_f64 v[72:73], v[2:3], s[8:9], -v[72:73]
	v_fma_f64 v[86:87], v[2:3], s[2:3], v[84:85]
	v_fma_f64 v[84:85], v[2:3], s[2:3], -v[84:85]
	v_fma_f64 v[94:95], v[2:3], s[14:15], v[92:93]
	v_fma_f64 v[92:93], v[2:3], s[14:15], -v[92:93]
	v_fma_f64 v[102:103], v[2:3], s[16:17], v[100:101]
	v_fma_f64 v[100:101], v[2:3], s[16:17], -v[100:101]
	v_fma_f64 v[178:179], v[2:3], s[18:19], v[176:177]
	v_fma_f64 v[176:177], v[2:3], s[18:19], -v[176:177]
	v_fma_f64 v[186:187], v[2:3], s[20:21], v[184:185]
	v_fma_f64 v[184:185], v[2:3], s[20:21], -v[184:185]
	v_fma_f64 v[194:195], v[2:3], s[22:23], v[192:193]
	v_fma_f64 v[192:193], v[2:3], s[22:23], -v[192:193]
	v_fma_f64 v[198:199], v[2:3], s[24:25], v[64:65]
	v_fma_f64 v[2:3], v[2:3], s[24:25], -v[64:65]
	v_fma_f64 v[70:71], v[0:1], s[8:9], -v[68:69]
	v_fma_f64 v[68:69], v[0:1], s[8:9], v[68:69]
	v_fma_f64 v[82:83], v[0:1], s[2:3], -v[76:77]
	v_fma_f64 v[76:77], v[0:1], s[2:3], v[76:77]
	;; [unrolled: 2-line block ×8, first 2 shown]
	v_add_f64 v[74:75], v[58:59], v[74:75]
	v_add_f64 v[72:73], v[58:59], v[72:73]
	;; [unrolled: 1-line block ×17, first 2 shown]
	v_add_f64 v[54:55], v[54:55], -v[62:63]
	v_add_f64 v[70:71], v[56:57], v[70:71]
	v_add_f64 v[68:69], v[56:57], v[68:69]
	v_add_f64 v[82:83], v[56:57], v[82:83]
	v_add_f64 v[76:77], v[56:57], v[76:77]
	v_add_f64 v[90:91], v[56:57], v[90:91]
	v_add_f64 v[88:89], v[56:57], v[88:89]
	v_add_f64 v[98:99], v[56:57], v[98:99]
	v_add_f64 v[96:97], v[56:57], v[96:97]
	v_add_f64 v[106:107], v[56:57], v[106:107]
	v_add_f64 v[104:105], v[56:57], v[104:105]
	v_add_f64 v[182:183], v[56:57], v[182:183]
	v_add_f64 v[180:181], v[56:57], v[180:181]
	v_add_f64 v[190:191], v[56:57], v[190:191]
	v_add_f64 v[188:189], v[56:57], v[188:189]
	v_add_f64 v[196:197], v[56:57], v[196:197]
	v_add_f64 v[0:1], v[56:57], v[0:1]
	v_add_f64 v[56:57], v[52:53], v[60:61]
	v_add_f64 v[52:53], v[52:53], -v[60:61]
	v_mul_f64 v[60:61], v[54:55], s[48:49]
	s_delay_alu instid0(VALU_DEP_2) | instskip(NEXT) | instid1(VALU_DEP_2)
	v_mul_f64 v[64:65], v[52:53], s[48:49]
	v_fma_f64 v[62:63], v[56:57], s[2:3], -v[60:61]
	v_fma_f64 v[60:61], v[56:57], s[2:3], v[60:61]
	s_delay_alu instid0(VALU_DEP_3) | instskip(SKIP_1) | instid1(VALU_DEP_4)
	v_fma_f64 v[66:67], v[58:59], s[2:3], v[64:65]
	v_fma_f64 v[64:65], v[58:59], s[2:3], -v[64:65]
	v_add_f64 v[62:63], v[62:63], v[70:71]
	s_delay_alu instid0(VALU_DEP_4) | instskip(SKIP_4) | instid1(VALU_DEP_4)
	v_add_f64 v[60:61], v[60:61], v[68:69]
	v_mul_f64 v[68:69], v[54:55], s[46:47]
	v_add_f64 v[66:67], v[66:67], v[74:75]
	v_add_f64 v[64:65], v[64:65], v[72:73]
	v_mul_f64 v[72:73], v[52:53], s[46:47]
	v_fma_f64 v[70:71], v[56:57], s[16:17], -v[68:69]
	v_fma_f64 v[68:69], v[56:57], s[16:17], v[68:69]
	s_delay_alu instid0(VALU_DEP_3) | instskip(SKIP_1) | instid1(VALU_DEP_4)
	v_fma_f64 v[74:75], v[58:59], s[16:17], v[72:73]
	v_fma_f64 v[72:73], v[58:59], s[16:17], -v[72:73]
	v_add_f64 v[70:71], v[70:71], v[82:83]
	s_delay_alu instid0(VALU_DEP_4) | instskip(SKIP_4) | instid1(VALU_DEP_4)
	v_add_f64 v[68:69], v[68:69], v[76:77]
	v_mul_f64 v[76:77], v[54:55], s[28:29]
	v_add_f64 v[74:75], v[74:75], v[86:87]
	v_add_f64 v[72:73], v[72:73], v[84:85]
	;; [unrolled: 12-line block ×5, first 2 shown]
	v_mul_f64 v[176:177], v[52:53], s[52:53]
	v_fma_f64 v[106:107], v[56:57], s[18:19], -v[104:105]
	v_fma_f64 v[104:105], v[56:57], s[18:19], v[104:105]
	s_delay_alu instid0(VALU_DEP_3) | instskip(SKIP_1) | instid1(VALU_DEP_4)
	v_fma_f64 v[178:179], v[58:59], s[18:19], v[176:177]
	v_fma_f64 v[176:177], v[58:59], s[18:19], -v[176:177]
	v_add_f64 v[106:107], v[106:107], v[182:183]
	s_delay_alu instid0(VALU_DEP_4)
	v_add_f64 v[104:105], v[104:105], v[180:181]
	v_mul_f64 v[180:181], v[54:55], s[34:35]
	v_mul_f64 v[54:55], v[54:55], s[40:41]
	v_add_f64 v[178:179], v[178:179], v[186:187]
	v_add_f64 v[176:177], v[176:177], v[184:185]
	v_mul_f64 v[184:185], v[52:53], s[34:35]
	v_mul_f64 v[52:53], v[52:53], s[40:41]
	v_fma_f64 v[182:183], v[56:57], s[14:15], -v[180:181]
	v_fma_f64 v[180:181], v[56:57], s[14:15], v[180:181]
	s_delay_alu instid0(VALU_DEP_4) | instskip(SKIP_1) | instid1(VALU_DEP_4)
	v_fma_f64 v[186:187], v[58:59], s[14:15], v[184:185]
	v_fma_f64 v[184:185], v[58:59], s[14:15], -v[184:185]
	v_add_f64 v[182:183], v[182:183], v[190:191]
	s_delay_alu instid0(VALU_DEP_4)
	v_add_f64 v[180:181], v[180:181], v[188:189]
	v_fma_f64 v[188:189], v[56:57], s[8:9], -v[54:55]
	v_fma_f64 v[54:55], v[56:57], s[8:9], v[54:55]
	v_fma_f64 v[190:191], v[58:59], s[8:9], v[52:53]
	v_fma_f64 v[52:53], v[58:59], s[8:9], -v[52:53]
	v_add_f64 v[186:187], v[186:187], v[194:195]
	v_add_f64 v[184:185], v[184:185], v[192:193]
	;; [unrolled: 1-line block ×5, first 2 shown]
	v_add_f64 v[46:47], v[46:47], -v[50:51]
	v_add_f64 v[2:3], v[52:53], v[2:3]
	v_add_f64 v[52:53], v[44:45], v[48:49]
	v_add_f64 v[44:45], v[44:45], -v[48:49]
	v_add_f64 v[190:191], v[190:191], v[198:199]
	v_mul_f64 v[48:49], v[46:47], s[54:55]
	s_delay_alu instid0(VALU_DEP_3) | instskip(NEXT) | instid1(VALU_DEP_2)
	v_mul_f64 v[56:57], v[44:45], s[54:55]
	v_fma_f64 v[50:51], v[52:53], s[14:15], -v[48:49]
	v_fma_f64 v[48:49], v[52:53], s[14:15], v[48:49]
	s_delay_alu instid0(VALU_DEP_3) | instskip(SKIP_1) | instid1(VALU_DEP_4)
	v_fma_f64 v[58:59], v[54:55], s[14:15], v[56:57]
	v_fma_f64 v[56:57], v[54:55], s[14:15], -v[56:57]
	v_add_f64 v[50:51], v[50:51], v[62:63]
	s_delay_alu instid0(VALU_DEP_4) | instskip(SKIP_4) | instid1(VALU_DEP_4)
	v_add_f64 v[48:49], v[48:49], v[60:61]
	v_mul_f64 v[60:61], v[46:47], s[28:29]
	v_add_f64 v[58:59], v[58:59], v[66:67]
	v_add_f64 v[56:57], v[56:57], v[64:65]
	v_mul_f64 v[64:65], v[44:45], s[28:29]
	v_fma_f64 v[62:63], v[52:53], s[20:21], -v[60:61]
	v_fma_f64 v[60:61], v[52:53], s[20:21], v[60:61]
	s_delay_alu instid0(VALU_DEP_3) | instskip(SKIP_1) | instid1(VALU_DEP_4)
	v_fma_f64 v[66:67], v[54:55], s[20:21], v[64:65]
	v_fma_f64 v[64:65], v[54:55], s[20:21], -v[64:65]
	v_add_f64 v[62:63], v[62:63], v[70:71]
	s_delay_alu instid0(VALU_DEP_4) | instskip(SKIP_4) | instid1(VALU_DEP_4)
	v_add_f64 v[60:61], v[60:61], v[68:69]
	v_mul_f64 v[68:69], v[46:47], s[58:59]
	v_add_f64 v[66:67], v[66:67], v[74:75]
	v_add_f64 v[64:65], v[64:65], v[72:73]
	;; [unrolled: 12-line block ×5, first 2 shown]
	v_mul_f64 v[100:101], v[44:45], s[44:45]
	v_fma_f64 v[98:99], v[52:53], s[8:9], -v[96:97]
	v_fma_f64 v[96:97], v[52:53], s[8:9], v[96:97]
	s_delay_alu instid0(VALU_DEP_3) | instskip(SKIP_1) | instid1(VALU_DEP_4)
	v_fma_f64 v[102:103], v[54:55], s[8:9], v[100:101]
	v_fma_f64 v[100:101], v[54:55], s[8:9], -v[100:101]
	v_add_f64 v[98:99], v[98:99], v[106:107]
	s_delay_alu instid0(VALU_DEP_4)
	v_add_f64 v[96:97], v[96:97], v[104:105]
	v_mul_f64 v[104:105], v[46:47], s[46:47]
	v_mul_f64 v[46:47], v[46:47], s[36:37]
	v_add_f64 v[100:101], v[100:101], v[176:177]
	v_mul_f64 v[176:177], v[44:45], s[46:47]
	v_mul_f64 v[44:45], v[44:45], s[36:37]
	v_add_f64 v[102:103], v[102:103], v[178:179]
	v_fma_f64 v[106:107], v[52:53], s[16:17], -v[104:105]
	v_fma_f64 v[104:105], v[52:53], s[16:17], v[104:105]
	v_fma_f64 v[178:179], v[54:55], s[16:17], v[176:177]
	v_fma_f64 v[176:177], v[54:55], s[16:17], -v[176:177]
	s_delay_alu instid0(VALU_DEP_4) | instskip(NEXT) | instid1(VALU_DEP_4)
	v_add_f64 v[106:107], v[106:107], v[182:183]
	v_add_f64 v[104:105], v[104:105], v[180:181]
	v_fma_f64 v[180:181], v[52:53], s[22:23], -v[46:47]
	v_fma_f64 v[46:47], v[52:53], s[22:23], v[46:47]
	v_fma_f64 v[182:183], v[54:55], s[22:23], v[44:45]
	v_fma_f64 v[44:45], v[54:55], s[22:23], -v[44:45]
	v_add_f64 v[178:179], v[178:179], v[186:187]
	v_add_f64 v[176:177], v[176:177], v[184:185]
	;; [unrolled: 1-line block ×5, first 2 shown]
	v_add_f64 v[38:39], v[38:39], -v[42:43]
	v_add_f64 v[2:3], v[44:45], v[2:3]
	v_add_f64 v[44:45], v[36:37], v[40:41]
	v_add_f64 v[36:37], v[36:37], -v[40:41]
	v_add_f64 v[182:183], v[182:183], v[190:191]
	v_mul_f64 v[40:41], v[38:39], s[46:47]
	s_delay_alu instid0(VALU_DEP_1) | instskip(SKIP_1) | instid1(VALU_DEP_2)
	v_fma_f64 v[42:43], v[44:45], s[16:17], -v[40:41]
	v_fma_f64 v[40:41], v[44:45], s[16:17], v[40:41]
	v_add_f64 v[42:43], v[42:43], v[50:51]
	v_mul_f64 v[50:51], v[36:37], s[46:47]
	s_delay_alu instid0(VALU_DEP_3) | instskip(NEXT) | instid1(VALU_DEP_2)
	v_add_f64 v[40:41], v[40:41], v[48:49]
	v_fma_f64 v[52:53], v[46:47], s[16:17], v[50:51]
	v_fma_f64 v[48:49], v[46:47], s[16:17], -v[50:51]
	v_mul_f64 v[50:51], v[38:39], s[42:43]
	s_delay_alu instid0(VALU_DEP_3) | instskip(NEXT) | instid1(VALU_DEP_3)
	v_add_f64 v[52:53], v[52:53], v[58:59]
	v_add_f64 v[48:49], v[48:49], v[56:57]
	s_delay_alu instid0(VALU_DEP_3) | instskip(SKIP_2) | instid1(VALU_DEP_3)
	v_fma_f64 v[54:55], v[44:45], s[24:25], -v[50:51]
	v_fma_f64 v[50:51], v[44:45], s[24:25], v[50:51]
	v_mul_f64 v[56:57], v[36:37], s[42:43]
	v_add_f64 v[54:55], v[54:55], v[62:63]
	s_delay_alu instid0(VALU_DEP_3) | instskip(SKIP_1) | instid1(VALU_DEP_4)
	v_add_f64 v[50:51], v[50:51], v[60:61]
	v_mul_f64 v[60:61], v[38:39], s[52:53]
	v_fma_f64 v[58:59], v[46:47], s[24:25], v[56:57]
	v_fma_f64 v[56:57], v[46:47], s[24:25], -v[56:57]
	s_delay_alu instid0(VALU_DEP_3) | instskip(SKIP_1) | instid1(VALU_DEP_3)
	v_fma_f64 v[62:63], v[44:45], s[18:19], -v[60:61]
	v_fma_f64 v[60:61], v[44:45], s[18:19], v[60:61]
	v_add_f64 v[56:57], v[56:57], v[64:65]
	v_mul_f64 v[64:65], v[36:37], s[52:53]
	v_add_f64 v[58:59], v[58:59], v[66:67]
	v_add_f64 v[62:63], v[62:63], v[70:71]
	v_add_f64 v[60:61], v[60:61], v[68:69]
	v_mul_f64 v[68:69], v[38:39], s[40:41]
	v_fma_f64 v[66:67], v[46:47], s[18:19], v[64:65]
	v_fma_f64 v[64:65], v[46:47], s[18:19], -v[64:65]
	s_delay_alu instid0(VALU_DEP_3) | instskip(SKIP_1) | instid1(VALU_DEP_3)
	v_fma_f64 v[70:71], v[44:45], s[8:9], -v[68:69]
	v_fma_f64 v[68:69], v[44:45], s[8:9], v[68:69]
	v_add_f64 v[64:65], v[64:65], v[72:73]
	v_mul_f64 v[72:73], v[36:37], s[40:41]
	v_add_f64 v[66:67], v[66:67], v[74:75]
	v_add_f64 v[70:71], v[70:71], v[82:83]
	;; [unrolled: 11-line block ×4, first 2 shown]
	v_add_f64 v[88:89], v[88:89], v[96:97]
	v_mul_f64 v[96:97], v[38:39], s[50:51]
	v_fma_f64 v[94:95], v[46:47], s[22:23], v[92:93]
	v_fma_f64 v[92:93], v[46:47], s[22:23], -v[92:93]
	v_mul_f64 v[38:39], v[38:39], s[38:39]
	s_delay_alu instid0(VALU_DEP_4) | instskip(SKIP_1) | instid1(VALU_DEP_4)
	v_fma_f64 v[98:99], v[44:45], s[20:21], -v[96:97]
	v_fma_f64 v[96:97], v[44:45], s[20:21], v[96:97]
	v_add_f64 v[92:93], v[92:93], v[100:101]
	v_mul_f64 v[100:101], v[36:37], s[50:51]
	v_mul_f64 v[36:37], v[36:37], s[38:39]
	v_add_f64 v[94:95], v[94:95], v[102:103]
	v_add_f64 v[98:99], v[98:99], v[106:107]
	;; [unrolled: 1-line block ×3, first 2 shown]
	v_fma_f64 v[104:105], v[44:45], s[2:3], -v[38:39]
	v_fma_f64 v[38:39], v[44:45], s[2:3], v[38:39]
	v_fma_f64 v[106:107], v[46:47], s[2:3], v[36:37]
	v_fma_f64 v[36:37], v[46:47], s[2:3], -v[36:37]
	v_fma_f64 v[102:103], v[46:47], s[20:21], v[100:101]
	v_fma_f64 v[100:101], v[46:47], s[20:21], -v[100:101]
	v_add_f64 v[104:105], v[104:105], v[180:181]
	v_add_f64 v[0:1], v[38:39], v[0:1]
	;; [unrolled: 1-line block ×3, first 2 shown]
	v_add_f64 v[30:31], v[30:31], -v[34:35]
	v_add_f64 v[2:3], v[36:37], v[2:3]
	v_add_f64 v[36:37], v[28:29], v[32:33]
	v_add_f64 v[28:29], v[28:29], -v[32:33]
	v_add_f64 v[102:103], v[102:103], v[178:179]
	v_add_f64 v[100:101], v[100:101], v[176:177]
	;; [unrolled: 1-line block ×4, first 2 shown]
	v_mul_f64 v[32:33], v[30:31], s[26:27]
	s_delay_alu instid0(VALU_DEP_1) | instskip(SKIP_1) | instid1(VALU_DEP_2)
	v_fma_f64 v[34:35], v[36:37], s[18:19], -v[32:33]
	v_fma_f64 v[32:33], v[36:37], s[18:19], v[32:33]
	v_add_f64 v[34:35], v[34:35], v[42:43]
	v_mul_f64 v[42:43], v[28:29], s[26:27]
	s_delay_alu instid0(VALU_DEP_3) | instskip(NEXT) | instid1(VALU_DEP_2)
	v_add_f64 v[32:33], v[32:33], v[40:41]
	v_fma_f64 v[44:45], v[38:39], s[18:19], v[42:43]
	v_fma_f64 v[40:41], v[38:39], s[18:19], -v[42:43]
	v_mul_f64 v[42:43], v[30:31], s[56:57]
	s_delay_alu instid0(VALU_DEP_3) | instskip(NEXT) | instid1(VALU_DEP_3)
	v_add_f64 v[44:45], v[44:45], v[52:53]
	v_add_f64 v[40:41], v[40:41], v[48:49]
	s_delay_alu instid0(VALU_DEP_3) | instskip(SKIP_2) | instid1(VALU_DEP_3)
	v_fma_f64 v[46:47], v[36:37], s[22:23], -v[42:43]
	v_fma_f64 v[42:43], v[36:37], s[22:23], v[42:43]
	v_mul_f64 v[48:49], v[28:29], s[56:57]
	v_add_f64 v[46:47], v[46:47], v[54:55]
	s_delay_alu instid0(VALU_DEP_3) | instskip(SKIP_1) | instid1(VALU_DEP_4)
	v_add_f64 v[42:43], v[42:43], v[50:51]
	v_mul_f64 v[50:51], v[30:31], s[38:39]
	v_fma_f64 v[52:53], v[38:39], s[22:23], v[48:49]
	v_fma_f64 v[48:49], v[38:39], s[22:23], -v[48:49]
	s_delay_alu instid0(VALU_DEP_3) | instskip(SKIP_1) | instid1(VALU_DEP_3)
	v_fma_f64 v[54:55], v[36:37], s[2:3], -v[50:51]
	v_fma_f64 v[50:51], v[36:37], s[2:3], v[50:51]
	v_add_f64 v[48:49], v[48:49], v[56:57]
	v_mul_f64 v[56:57], v[28:29], s[38:39]
	v_add_f64 v[52:53], v[52:53], v[58:59]
	v_add_f64 v[54:55], v[54:55], v[62:63]
	v_add_f64 v[50:51], v[50:51], v[60:61]
	v_mul_f64 v[60:61], v[30:31], s[54:55]
	v_fma_f64 v[58:59], v[38:39], s[2:3], v[56:57]
	v_fma_f64 v[56:57], v[38:39], s[2:3], -v[56:57]
	s_delay_alu instid0(VALU_DEP_3) | instskip(SKIP_1) | instid1(VALU_DEP_3)
	v_fma_f64 v[62:63], v[36:37], s[14:15], -v[60:61]
	v_fma_f64 v[60:61], v[36:37], s[14:15], v[60:61]
	v_add_f64 v[56:57], v[56:57], v[64:65]
	v_mul_f64 v[64:65], v[28:29], s[54:55]
	v_add_f64 v[58:59], v[58:59], v[66:67]
	v_add_f64 v[62:63], v[62:63], v[70:71]
	v_add_f64 v[60:61], v[60:61], v[68:69]
	v_mul_f64 v[68:69], v[30:31], s[42:43]
	v_fma_f64 v[66:67], v[38:39], s[14:15], v[64:65]
	v_fma_f64 v[64:65], v[38:39], s[14:15], -v[64:65]
	s_delay_alu instid0(VALU_DEP_3) | instskip(SKIP_1) | instid1(VALU_DEP_3)
	v_fma_f64 v[70:71], v[36:37], s[24:25], -v[68:69]
	v_fma_f64 v[68:69], v[36:37], s[24:25], v[68:69]
	v_add_f64 v[64:65], v[64:65], v[72:73]
	v_mul_f64 v[72:73], v[28:29], s[42:43]
	v_add_f64 v[66:67], v[66:67], v[74:75]
	v_add_f64 v[70:71], v[70:71], v[82:83]
	v_add_f64 v[68:69], v[68:69], v[76:77]
	v_mul_f64 v[76:77], v[30:31], s[30:31]
	v_fma_f64 v[74:75], v[38:39], s[24:25], v[72:73]
	v_fma_f64 v[72:73], v[38:39], s[24:25], -v[72:73]
	s_delay_alu instid0(VALU_DEP_3) | instskip(SKIP_1) | instid1(VALU_DEP_3)
	v_fma_f64 v[82:83], v[36:37], s[16:17], -v[76:77]
	v_fma_f64 v[76:77], v[36:37], s[16:17], v[76:77]
	v_add_f64 v[72:73], v[72:73], v[84:85]
	v_mul_f64 v[84:85], v[28:29], s[30:31]
	v_add_f64 v[74:75], v[74:75], v[86:87]
	v_add_f64 v[82:83], v[82:83], v[90:91]
	v_add_f64 v[76:77], v[76:77], v[88:89]
	v_mul_f64 v[88:89], v[30:31], s[44:45]
	v_fma_f64 v[86:87], v[38:39], s[16:17], v[84:85]
	v_fma_f64 v[84:85], v[38:39], s[16:17], -v[84:85]
	v_mul_f64 v[30:31], v[30:31], s[28:29]
	s_delay_alu instid0(VALU_DEP_4) | instskip(SKIP_1) | instid1(VALU_DEP_4)
	v_fma_f64 v[90:91], v[36:37], s[8:9], -v[88:89]
	v_fma_f64 v[88:89], v[36:37], s[8:9], v[88:89]
	v_add_f64 v[84:85], v[84:85], v[92:93]
	v_mul_f64 v[92:93], v[28:29], s[44:45]
	v_mul_f64 v[28:29], v[28:29], s[28:29]
	v_add_f64 v[86:87], v[86:87], v[94:95]
	v_add_f64 v[90:91], v[90:91], v[98:99]
	;; [unrolled: 1-line block ×3, first 2 shown]
	v_fma_f64 v[96:97], v[36:37], s[20:21], -v[30:31]
	v_fma_f64 v[30:31], v[36:37], s[20:21], v[30:31]
	v_fma_f64 v[98:99], v[38:39], s[20:21], v[28:29]
	v_fma_f64 v[28:29], v[38:39], s[20:21], -v[28:29]
	v_fma_f64 v[94:95], v[38:39], s[8:9], v[92:93]
	v_fma_f64 v[92:93], v[38:39], s[8:9], -v[92:93]
	v_add_f64 v[96:97], v[96:97], v[104:105]
	v_add_f64 v[0:1], v[30:31], v[0:1]
	;; [unrolled: 1-line block ×3, first 2 shown]
	v_add_f64 v[22:23], v[22:23], -v[26:27]
	v_add_f64 v[2:3], v[28:29], v[2:3]
	v_add_f64 v[28:29], v[20:21], v[24:25]
	v_add_f64 v[20:21], v[20:21], -v[24:25]
	v_add_f64 v[94:95], v[94:95], v[102:103]
	v_add_f64 v[92:93], v[92:93], v[100:101]
	;; [unrolled: 1-line block ×3, first 2 shown]
	v_mul_f64 v[24:25], v[22:23], s[28:29]
	s_delay_alu instid0(VALU_DEP_1) | instskip(SKIP_1) | instid1(VALU_DEP_2)
	v_fma_f64 v[26:27], v[28:29], s[20:21], -v[24:25]
	v_fma_f64 v[24:25], v[28:29], s[20:21], v[24:25]
	v_add_f64 v[26:27], v[26:27], v[34:35]
	v_mul_f64 v[34:35], v[20:21], s[28:29]
	s_delay_alu instid0(VALU_DEP_3) | instskip(NEXT) | instid1(VALU_DEP_2)
	v_add_f64 v[24:25], v[24:25], v[32:33]
	v_fma_f64 v[32:33], v[30:31], s[20:21], -v[34:35]
	v_fma_f64 v[36:37], v[30:31], s[20:21], v[34:35]
	v_mul_f64 v[34:35], v[22:23], s[52:53]
	s_delay_alu instid0(VALU_DEP_3) | instskip(SKIP_1) | instid1(VALU_DEP_4)
	v_add_f64 v[32:33], v[32:33], v[40:41]
	v_mul_f64 v[40:41], v[20:21], s[52:53]
	v_add_f64 v[36:37], v[36:37], v[44:45]
	s_delay_alu instid0(VALU_DEP_4) | instskip(SKIP_1) | instid1(VALU_DEP_4)
	v_fma_f64 v[38:39], v[28:29], s[18:19], -v[34:35]
	v_fma_f64 v[34:35], v[28:29], s[18:19], v[34:35]
	v_fma_f64 v[44:45], v[30:31], s[18:19], v[40:41]
	v_fma_f64 v[40:41], v[30:31], s[18:19], -v[40:41]
	s_delay_alu instid0(VALU_DEP_4) | instskip(NEXT) | instid1(VALU_DEP_4)
	v_add_f64 v[38:39], v[38:39], v[46:47]
	v_add_f64 v[34:35], v[34:35], v[42:43]
	v_mul_f64 v[42:43], v[22:23], s[44:45]
	v_add_f64 v[44:45], v[44:45], v[52:53]
	v_add_f64 v[40:41], v[40:41], v[48:49]
	v_mul_f64 v[48:49], v[20:21], s[44:45]
	s_delay_alu instid0(VALU_DEP_4) | instskip(SKIP_1) | instid1(VALU_DEP_3)
	v_fma_f64 v[46:47], v[28:29], s[8:9], -v[42:43]
	v_fma_f64 v[42:43], v[28:29], s[8:9], v[42:43]
	v_fma_f64 v[52:53], v[30:31], s[8:9], v[48:49]
	v_fma_f64 v[48:49], v[30:31], s[8:9], -v[48:49]
	s_delay_alu instid0(VALU_DEP_4) | instskip(NEXT) | instid1(VALU_DEP_4)
	v_add_f64 v[46:47], v[46:47], v[54:55]
	v_add_f64 v[42:43], v[42:43], v[50:51]
	v_mul_f64 v[50:51], v[22:23], s[36:37]
	v_add_f64 v[52:53], v[52:53], v[58:59]
	v_add_f64 v[48:49], v[48:49], v[56:57]
	v_mul_f64 v[56:57], v[20:21], s[36:37]
	s_delay_alu instid0(VALU_DEP_4) | instskip(SKIP_1) | instid1(VALU_DEP_3)
	v_fma_f64 v[54:55], v[28:29], s[22:23], -v[50:51]
	v_fma_f64 v[50:51], v[28:29], s[22:23], v[50:51]
	v_fma_f64 v[58:59], v[30:31], s[22:23], v[56:57]
	v_fma_f64 v[56:57], v[30:31], s[22:23], -v[56:57]
	s_delay_alu instid0(VALU_DEP_4) | instskip(NEXT) | instid1(VALU_DEP_4)
	v_add_f64 v[54:55], v[54:55], v[62:63]
	v_add_f64 v[50:51], v[50:51], v[60:61]
	s_delay_alu instid0(VALU_DEP_4) | instskip(NEXT) | instid1(VALU_DEP_4)
	v_add_f64 v[100:101], v[58:59], v[66:67]
	v_add_f64 v[102:103], v[56:57], v[64:65]
	v_mul_f64 v[56:57], v[22:23], s[30:31]
	s_delay_alu instid0(VALU_DEP_1) | instskip(SKIP_1) | instid1(VALU_DEP_2)
	v_fma_f64 v[58:59], v[28:29], s[16:17], -v[56:57]
	v_fma_f64 v[56:57], v[28:29], s[16:17], v[56:57]
	v_add_f64 v[104:105], v[58:59], v[70:71]
	v_mul_f64 v[58:59], v[20:21], s[30:31]
	s_delay_alu instid0(VALU_DEP_3) | instskip(NEXT) | instid1(VALU_DEP_2)
	v_add_f64 v[106:107], v[56:57], v[68:69]
	v_fma_f64 v[56:57], v[30:31], s[16:17], -v[58:59]
	v_fma_f64 v[60:61], v[30:31], s[16:17], v[58:59]
	s_delay_alu instid0(VALU_DEP_2) | instskip(SKIP_1) | instid1(VALU_DEP_3)
	v_add_f64 v[72:73], v[56:57], v[72:73]
	v_mul_f64 v[56:57], v[22:23], s[48:49]
	v_add_f64 v[74:75], v[60:61], v[74:75]
	s_delay_alu instid0(VALU_DEP_2) | instskip(SKIP_1) | instid1(VALU_DEP_2)
	v_fma_f64 v[58:59], v[28:29], s[2:3], -v[56:57]
	v_fma_f64 v[56:57], v[28:29], s[2:3], v[56:57]
	v_add_f64 v[82:83], v[58:59], v[82:83]
	v_mul_f64 v[58:59], v[20:21], s[48:49]
	s_delay_alu instid0(VALU_DEP_3) | instskip(NEXT) | instid1(VALU_DEP_2)
	v_add_f64 v[76:77], v[56:57], v[76:77]
	v_fma_f64 v[56:57], v[30:31], s[2:3], -v[58:59]
	v_fma_f64 v[60:61], v[30:31], s[2:3], v[58:59]
	s_delay_alu instid0(VALU_DEP_2) | instskip(SKIP_2) | instid1(VALU_DEP_4)
	v_add_f64 v[84:85], v[56:57], v[84:85]
	v_mul_f64 v[56:57], v[22:23], s[42:43]
	v_mul_f64 v[22:23], v[22:23], s[34:35]
	v_add_f64 v[86:87], v[60:61], v[86:87]
	s_delay_alu instid0(VALU_DEP_3) | instskip(SKIP_1) | instid1(VALU_DEP_2)
	v_fma_f64 v[58:59], v[28:29], s[24:25], -v[56:57]
	v_fma_f64 v[56:57], v[28:29], s[24:25], v[56:57]
	v_add_f64 v[90:91], v[58:59], v[90:91]
	v_mul_f64 v[58:59], v[20:21], s[42:43]
	s_delay_alu instid0(VALU_DEP_3) | instskip(SKIP_1) | instid1(VALU_DEP_3)
	v_add_f64 v[88:89], v[56:57], v[88:89]
	v_mul_f64 v[20:21], v[20:21], s[34:35]
	v_fma_f64 v[56:57], v[30:31], s[24:25], -v[58:59]
	v_fma_f64 v[60:61], v[30:31], s[24:25], v[58:59]
	s_delay_alu instid0(VALU_DEP_2) | instskip(SKIP_2) | instid1(VALU_DEP_4)
	v_add_f64 v[92:93], v[56:57], v[92:93]
	v_fma_f64 v[56:57], v[28:29], s[14:15], -v[22:23]
	v_fma_f64 v[22:23], v[28:29], s[14:15], v[22:23]
	v_add_f64 v[94:95], v[60:61], v[94:95]
	s_delay_alu instid0(VALU_DEP_3) | instskip(SKIP_1) | instid1(VALU_DEP_4)
	v_add_f64 v[96:97], v[56:57], v[96:97]
	v_fma_f64 v[56:57], v[30:31], s[14:15], v[20:21]
	v_add_f64 v[0:1], v[22:23], v[0:1]
	v_fma_f64 v[20:21], v[30:31], s[14:15], -v[20:21]
	v_add_f64 v[22:23], v[14:15], -v[18:19]
	s_delay_alu instid0(VALU_DEP_4) | instskip(NEXT) | instid1(VALU_DEP_3)
	v_add_f64 v[98:99], v[56:57], v[98:99]
	v_add_f64 v[176:177], v[20:21], v[2:3]
	;; [unrolled: 1-line block ×3, first 2 shown]
	v_add_f64 v[20:21], v[12:13], -v[16:17]
	v_mul_f64 v[12:13], v[22:23], s[36:37]
	s_delay_alu instid0(VALU_DEP_1) | instskip(SKIP_1) | instid1(VALU_DEP_2)
	v_fma_f64 v[14:15], v[2:3], s[22:23], -v[12:13]
	v_fma_f64 v[12:13], v[2:3], s[22:23], v[12:13]
	v_add_f64 v[68:69], v[14:15], v[26:27]
	s_delay_alu instid0(VALU_DEP_2) | instskip(SKIP_2) | instid1(VALU_DEP_2)
	v_add_f64 v[66:67], v[12:13], v[24:25]
	v_mul_f64 v[24:25], v[22:23], s[46:47]
	v_mul_f64 v[14:15], v[20:21], s[36:37]
	v_fma_f64 v[26:27], v[2:3], s[16:17], -v[24:25]
	v_fma_f64 v[24:25], v[2:3], s[16:17], v[24:25]
	s_delay_alu instid0(VALU_DEP_3) | instskip(SKIP_1) | instid1(VALU_DEP_4)
	v_fma_f64 v[12:13], v[178:179], s[22:23], -v[14:15]
	v_fma_f64 v[16:17], v[178:179], s[22:23], v[14:15]
	v_add_f64 v[60:61], v[26:27], v[46:47]
	v_mul_f64 v[26:27], v[20:21], s[46:47]
	v_add_f64 v[58:59], v[24:25], v[42:43]
	v_add_f64 v[64:65], v[12:13], v[32:33]
	v_mul_f64 v[12:13], v[22:23], s[34:35]
	v_add_f64 v[70:71], v[16:17], v[36:37]
	v_fma_f64 v[24:25], v[178:179], s[16:17], -v[26:27]
	v_fma_f64 v[28:29], v[178:179], s[16:17], v[26:27]
	s_delay_alu instid0(VALU_DEP_4) | instskip(SKIP_1) | instid1(VALU_DEP_4)
	v_fma_f64 v[14:15], v[2:3], s[14:15], -v[12:13]
	v_fma_f64 v[12:13], v[2:3], s[14:15], v[12:13]
	v_add_f64 v[56:57], v[24:25], v[48:49]
	v_mul_f64 v[24:25], v[22:23], s[50:51]
	v_add_f64 v[62:63], v[28:29], v[52:53]
	v_add_f64 v[16:17], v[14:15], v[38:39]
	v_mul_f64 v[14:15], v[20:21], s[34:35]
	v_add_f64 v[12:13], v[12:13], v[34:35]
	v_fma_f64 v[26:27], v[2:3], s[20:21], -v[24:25]
	v_fma_f64 v[24:25], v[2:3], s[20:21], v[24:25]
	s_delay_alu instid0(VALU_DEP_4) | instskip(SKIP_1) | instid1(VALU_DEP_4)
	v_fma_f64 v[18:19], v[178:179], s[14:15], v[14:15]
	v_fma_f64 v[14:15], v[178:179], s[14:15], -v[14:15]
	v_add_f64 v[52:53], v[26:27], v[54:55]
	v_mul_f64 v[26:27], v[20:21], s[50:51]
	v_add_f64 v[50:51], v[24:25], v[50:51]
	v_add_f64 v[18:19], v[18:19], v[44:45]
	;; [unrolled: 1-line block ×3, first 2 shown]
	s_delay_alu instid0(VALU_DEP_4) | instskip(SKIP_1) | instid1(VALU_DEP_2)
	v_fma_f64 v[24:25], v[178:179], s[20:21], -v[26:27]
	v_fma_f64 v[28:29], v[178:179], s[20:21], v[26:27]
	v_add_f64 v[48:49], v[24:25], v[102:103]
	v_mul_f64 v[24:25], v[22:23], s[44:45]
	s_delay_alu instid0(VALU_DEP_3) | instskip(SKIP_2) | instid1(VALU_DEP_4)
	v_add_f64 v[54:55], v[28:29], v[100:101]
	v_add_f64 v[100:101], v[162:163], -v[158:159]
	v_add_f64 v[102:103], v[160:161], -v[156:157]
	v_fma_f64 v[26:27], v[2:3], s[8:9], -v[24:25]
	v_fma_f64 v[24:25], v[2:3], s[8:9], v[24:25]
	s_delay_alu instid0(VALU_DEP_4) | instskip(NEXT) | instid1(VALU_DEP_4)
	v_mul_f64 v[232:233], v[100:101], s[36:37]
	v_mul_f64 v[234:235], v[102:103], s[36:37]
	;; [unrolled: 1-line block ×6, first 2 shown]
	v_add_f64 v[44:45], v[26:27], v[104:105]
	v_mul_f64 v[26:27], v[20:21], s[44:45]
	v_add_f64 v[42:43], v[24:25], v[106:107]
	v_add_f64 v[104:105], v[168:169], -v[172:173]
	s_delay_alu instid0(VALU_DEP_3) | instskip(SKIP_1) | instid1(VALU_DEP_2)
	v_fma_f64 v[24:25], v[178:179], s[8:9], -v[26:27]
	v_fma_f64 v[28:29], v[178:179], s[8:9], v[26:27]
	v_add_f64 v[40:41], v[24:25], v[72:73]
	v_mul_f64 v[24:25], v[22:23], s[42:43]
	s_delay_alu instid0(VALU_DEP_3) | instskip(SKIP_2) | instid1(VALU_DEP_4)
	v_add_f64 v[46:47], v[28:29], v[74:75]
	v_mul_f64 v[72:73], v[20:21], s[38:39]
	v_mul_f64 v[74:75], v[20:21], s[26:27]
	v_fma_f64 v[26:27], v[2:3], s[24:25], -v[24:25]
	v_fma_f64 v[24:25], v[2:3], s[24:25], v[24:25]
	s_delay_alu instid0(VALU_DEP_2) | instskip(SKIP_1) | instid1(VALU_DEP_3)
	v_add_f64 v[36:37], v[26:27], v[82:83]
	v_mul_f64 v[26:27], v[20:21], s[42:43]
	v_add_f64 v[34:35], v[24:25], v[76:77]
	v_fma_f64 v[20:21], v[178:179], s[18:19], v[74:75]
	v_add_f64 v[76:77], v[162:163], v[158:159]
	s_delay_alu instid0(VALU_DEP_4) | instskip(SKIP_1) | instid1(VALU_DEP_4)
	v_fma_f64 v[24:25], v[178:179], s[24:25], -v[26:27]
	v_fma_f64 v[28:29], v[178:179], s[24:25], v[26:27]
	v_add_f64 v[20:21], v[20:21], v[98:99]
	s_delay_alu instid0(VALU_DEP_3) | instskip(SKIP_1) | instid1(VALU_DEP_4)
	v_add_f64 v[32:33], v[24:25], v[84:85]
	v_mul_f64 v[24:25], v[22:23], s[38:39]
	v_add_f64 v[38:39], v[28:29], v[86:87]
	s_delay_alu instid0(VALU_DEP_2) | instskip(SKIP_1) | instid1(VALU_DEP_2)
	v_fma_f64 v[26:27], v[2:3], s[2:3], -v[24:25]
	v_fma_f64 v[24:25], v[2:3], s[2:3], v[24:25]
	v_add_f64 v[28:29], v[26:27], v[90:91]
	v_fma_f64 v[26:27], v[178:179], s[2:3], v[72:73]
	v_add_f64 v[90:91], v[142:143], v[126:127]
	s_delay_alu instid0(VALU_DEP_2) | instskip(SKIP_3) | instid1(VALU_DEP_2)
	v_add_f64 v[30:31], v[26:27], v[94:95]
	v_add_f64 v[26:27], v[24:25], v[88:89]
	v_fma_f64 v[24:25], v[178:179], s[2:3], -v[72:73]
	v_mul_f64 v[72:73], v[22:23], s[26:27]
	v_add_f64 v[24:25], v[24:25], v[92:93]
	s_delay_alu instid0(VALU_DEP_2) | instskip(SKIP_3) | instid1(VALU_DEP_4)
	v_fma_f64 v[22:23], v[2:3], s[18:19], -v[72:73]
	v_fma_f64 v[2:3], v[2:3], s[18:19], v[72:73]
	v_add_f64 v[72:73], v[6:7], v[10:11]
	v_add_f64 v[6:7], v[6:7], -v[10:11]
	v_add_f64 v[22:23], v[22:23], v[96:97]
	s_delay_alu instid0(VALU_DEP_4) | instskip(SKIP_4) | instid1(VALU_DEP_4)
	v_add_f64 v[2:3], v[2:3], v[0:1]
	v_fma_f64 v[0:1], v[178:179], s[18:19], -v[74:75]
	v_add_f64 v[74:75], v[4:5], v[8:9]
	v_add_f64 v[4:5], v[4:5], -v[8:9]
	v_mul_f64 v[8:9], v[6:7], s[42:43]
	v_add_f64 v[0:1], v[0:1], v[176:177]
	s_delay_alu instid0(VALU_DEP_2) | instskip(SKIP_1) | instid1(VALU_DEP_2)
	v_fma_f64 v[10:11], v[74:75], s[24:25], -v[8:9]
	v_fma_f64 v[8:9], v[74:75], s[24:25], v[8:9]
	v_add_f64 v[82:83], v[10:11], v[68:69]
	v_mul_f64 v[10:11], v[4:5], s[42:43]
	s_delay_alu instid0(VALU_DEP_3) | instskip(NEXT) | instid1(VALU_DEP_2)
	v_add_f64 v[66:67], v[8:9], v[66:67]
	v_fma_f64 v[68:69], v[72:73], s[24:25], v[10:11]
	v_fma_f64 v[8:9], v[72:73], s[24:25], -v[10:11]
	s_delay_alu instid0(VALU_DEP_2) | instskip(NEXT) | instid1(VALU_DEP_2)
	v_add_f64 v[84:85], v[68:69], v[70:71]
	v_add_f64 v[68:69], v[8:9], v[64:65]
	v_mul_f64 v[8:9], v[6:7], s[40:41]
	s_clause 0x1
	scratch_store_b128 off, v[82:85], off offset:500
	scratch_store_b128 off, v[66:69], off offset:484
	v_fma_f64 v[10:11], v[74:75], s[8:9], -v[8:9]
	v_fma_f64 v[8:9], v[74:75], s[8:9], v[8:9]
	v_add_f64 v[84:85], v[140:141], v[124:125]
	s_delay_alu instid0(VALU_DEP_3) | instskip(SKIP_1) | instid1(VALU_DEP_4)
	v_add_f64 v[16:17], v[10:11], v[16:17]
	v_mul_f64 v[10:11], v[4:5], s[40:41]
	v_add_f64 v[12:13], v[8:9], v[12:13]
	s_delay_alu instid0(VALU_DEP_2) | instskip(SKIP_1) | instid1(VALU_DEP_2)
	v_fma_f64 v[8:9], v[72:73], s[8:9], -v[10:11]
	v_fma_f64 v[64:65], v[72:73], s[8:9], v[10:11]
	v_add_f64 v[14:15], v[8:9], v[14:15]
	v_mul_f64 v[8:9], v[6:7], s[36:37]
	s_delay_alu instid0(VALU_DEP_3)
	v_add_f64 v[18:19], v[64:65], v[18:19]
	scratch_store_b128 off, v[12:15], off offset:516 ; 16-byte Folded Spill
	v_fma_f64 v[10:11], v[74:75], s[22:23], -v[8:9]
	scratch_store_b128 off, v[16:19], off offset:532 ; 16-byte Folded Spill
	v_fma_f64 v[8:9], v[74:75], s[22:23], v[8:9]
	v_add_f64 v[14:15], v[10:11], v[60:61]
	v_mul_f64 v[10:11], v[4:5], s[36:37]
	s_delay_alu instid0(VALU_DEP_1) | instskip(NEXT) | instid1(VALU_DEP_1)
	v_fma_f64 v[12:13], v[72:73], s[22:23], v[10:11]
	v_add_f64 v[16:17], v[12:13], v[62:63]
	v_add_f64 v[12:13], v[8:9], v[58:59]
	v_fma_f64 v[8:9], v[72:73], s[22:23], -v[10:11]
	scratch_store_b128 off, v[14:17], off offset:564 ; 16-byte Folded Spill
	v_add_f64 v[14:15], v[8:9], v[56:57]
	v_mul_f64 v[8:9], v[6:7], s[38:39]
	scratch_store_b128 off, v[12:15], off offset:548 ; 16-byte Folded Spill
	v_fma_f64 v[10:11], v[74:75], s[2:3], -v[8:9]
	v_fma_f64 v[8:9], v[74:75], s[2:3], v[8:9]
	s_delay_alu instid0(VALU_DEP_2) | instskip(SKIP_1) | instid1(VALU_DEP_3)
	v_add_f64 v[188:189], v[10:11], v[52:53]
	v_mul_f64 v[10:11], v[4:5], s[38:39]
	v_add_f64 v[184:185], v[8:9], v[50:51]
	v_add_f64 v[52:53], v[144:145], -v[116:117]
	s_delay_alu instid0(VALU_DEP_3) | instskip(SKIP_1) | instid1(VALU_DEP_2)
	v_fma_f64 v[8:9], v[72:73], s[2:3], -v[10:11]
	v_fma_f64 v[12:13], v[72:73], s[2:3], v[10:11]
	v_add_f64 v[186:187], v[8:9], v[48:49]
	v_mul_f64 v[8:9], v[6:7], s[28:29]
	s_delay_alu instid0(VALU_DEP_3) | instskip(SKIP_1) | instid1(VALU_DEP_3)
	v_add_f64 v[190:191], v[12:13], v[54:55]
	v_add_f64 v[54:55], v[146:147], -v[118:119]
	v_fma_f64 v[10:11], v[74:75], s[20:21], -v[8:9]
	v_fma_f64 v[8:9], v[74:75], s[20:21], v[8:9]
	s_delay_alu instid0(VALU_DEP_2) | instskip(SKIP_1) | instid1(VALU_DEP_3)
	v_add_f64 v[196:197], v[10:11], v[44:45]
	v_mul_f64 v[10:11], v[4:5], s[28:29]
	v_add_f64 v[192:193], v[8:9], v[42:43]
	s_delay_alu instid0(VALU_DEP_2) | instskip(SKIP_1) | instid1(VALU_DEP_2)
	v_fma_f64 v[8:9], v[72:73], s[20:21], -v[10:11]
	v_fma_f64 v[12:13], v[72:73], s[20:21], v[10:11]
	v_add_f64 v[194:195], v[8:9], v[40:41]
	v_mul_f64 v[8:9], v[6:7], s[34:35]
	s_delay_alu instid0(VALU_DEP_3) | instskip(NEXT) | instid1(VALU_DEP_2)
	v_add_f64 v[198:199], v[12:13], v[46:47]
	v_fma_f64 v[10:11], v[74:75], s[14:15], -v[8:9]
	v_fma_f64 v[8:9], v[74:75], s[14:15], v[8:9]
	s_delay_alu instid0(VALU_DEP_2) | instskip(SKIP_1) | instid1(VALU_DEP_3)
	v_add_f64 v[200:201], v[10:11], v[36:37]
	v_mul_f64 v[10:11], v[4:5], s[34:35]
	v_add_f64 v[204:205], v[8:9], v[34:35]
	s_delay_alu instid0(VALU_DEP_2) | instskip(SKIP_1) | instid1(VALU_DEP_2)
	v_fma_f64 v[8:9], v[72:73], s[14:15], -v[10:11]
	v_fma_f64 v[12:13], v[72:73], s[14:15], v[10:11]
	v_add_f64 v[206:207], v[8:9], v[32:33]
	v_mul_f64 v[8:9], v[6:7], s[26:27]
	v_mul_f64 v[6:7], v[6:7], s[30:31]
	s_delay_alu instid0(VALU_DEP_4) | instskip(NEXT) | instid1(VALU_DEP_3)
	v_add_f64 v[202:203], v[12:13], v[38:39]
	v_fma_f64 v[10:11], v[74:75], s[18:19], -v[8:9]
	v_fma_f64 v[8:9], v[74:75], s[18:19], v[8:9]
	s_delay_alu instid0(VALU_DEP_2) | instskip(SKIP_1) | instid1(VALU_DEP_3)
	v_add_f64 v[208:209], v[10:11], v[28:29]
	v_mul_f64 v[10:11], v[4:5], s[26:27]
	v_add_f64 v[176:177], v[8:9], v[26:27]
	v_mul_f64 v[4:5], v[4:5], s[30:31]
	s_delay_alu instid0(VALU_DEP_3) | instskip(SKIP_1) | instid1(VALU_DEP_2)
	v_fma_f64 v[8:9], v[72:73], s[18:19], -v[10:11]
	v_fma_f64 v[12:13], v[72:73], s[18:19], v[10:11]
	v_add_f64 v[178:179], v[8:9], v[24:25]
	v_fma_f64 v[8:9], v[74:75], s[16:17], -v[6:7]
	v_fma_f64 v[6:7], v[74:75], s[16:17], v[6:7]
	s_delay_alu instid0(VALU_DEP_4) | instskip(SKIP_1) | instid1(VALU_DEP_4)
	v_add_f64 v[210:211], v[12:13], v[30:31]
	v_add_f64 v[74:75], v[160:161], v[156:157]
	;; [unrolled: 1-line block ×3, first 2 shown]
	s_delay_alu instid0(VALU_DEP_4) | instskip(SKIP_3) | instid1(VALU_DEP_3)
	v_add_f64 v[220:221], v[6:7], v[2:3]
	v_fma_f64 v[2:3], v[72:73], s[16:17], -v[4:5]
	v_fma_f64 v[8:9], v[72:73], s[16:17], v[4:5]
	v_add_f64 v[22:23], v[138:139], v[114:115]
	v_add_f64 v[222:223], v[2:3], v[0:1]
	v_add_f64 v[2:3], v[138:139], -v[114:115]
	s_delay_alu instid0(VALU_DEP_4) | instskip(SKIP_2) | instid1(VALU_DEP_4)
	v_add_f64 v[182:183], v[8:9], v[20:21]
	v_add_f64 v[20:21], v[136:137], v[112:113]
	v_add_f64 v[0:1], v[136:137], -v[112:113]
	v_mul_f64 v[16:17], v[2:3], s[46:47]
	v_mul_f64 v[4:5], v[2:3], s[44:45]
	;; [unrolled: 1-line block ×3, first 2 shown]
	s_delay_alu instid0(VALU_DEP_4)
	v_mul_f64 v[18:19], v[0:1], s[46:47]
	v_mul_f64 v[12:13], v[2:3], s[54:55]
	;; [unrolled: 1-line block ×5, first 2 shown]
	v_fma_f64 v[24:25], v[20:21], s[16:17], v[16:17]
	scratch_store_b64 off, v[16:17], off offset:708 ; 8-byte Folded Spill
	v_mul_f64 v[16:17], v[2:3], s[26:27]
	s_clause 0x1
	scratch_store_b64 off, v[18:19], off offset:724
	scratch_store_b64 off, v[8:9], off offset:644
	v_fma_f64 v[8:9], v[20:21], s[2:3], v[8:9]
	s_clause 0x2
	scratch_store_b64 off, v[10:11], off offset:660
	scratch_store_b64 off, v[12:13], off offset:676
	scratch_store_b64 off, v[14:15], off offset:692
	v_fma_f64 v[10:11], v[22:23], s[2:3], -v[10:11]
	v_fma_f64 v[12:13], v[20:21], s[14:15], v[12:13]
	v_fma_f64 v[14:15], v[22:23], s[14:15], -v[14:15]
	scratch_store_b64 off, v[6:7], off offset:628 ; 8-byte Folded Spill
	v_fma_f64 v[6:7], v[22:23], s[8:9], -v[6:7]
	v_add_f64 v[28:29], v[24:25], v[108:109]
	v_fma_f64 v[24:25], v[22:23], s[16:17], -v[18:19]
	v_mul_f64 v[18:19], v[0:1], s[26:27]
	scratch_store_b64 off, v[16:17], off offset:740 ; 8-byte Folded Spill
	v_add_f64 v[8:9], v[8:9], v[108:109]
	v_add_f64 v[10:11], v[10:11], v[110:111]
	;; [unrolled: 1-line block ×6, first 2 shown]
	scratch_store_b64 off, v[18:19], off offset:756 ; 8-byte Folded Spill
	v_fma_f64 v[24:25], v[20:21], s[18:19], v[16:17]
	v_mul_f64 v[16:17], v[2:3], s[28:29]
	s_delay_alu instid0(VALU_DEP_2)
	v_add_f64 v[32:33], v[24:25], v[108:109]
	v_fma_f64 v[24:25], v[22:23], s[18:19], -v[18:19]
	v_mul_f64 v[18:19], v[0:1], s[28:29]
	scratch_store_b64 off, v[16:17], off offset:772 ; 8-byte Folded Spill
	v_add_f64 v[34:35], v[24:25], v[110:111]
	scratch_store_b64 off, v[18:19], off offset:788 ; 8-byte Folded Spill
	v_fma_f64 v[24:25], v[20:21], s[20:21], v[16:17]
	v_mul_f64 v[16:17], v[54:55], s[48:49]
	s_delay_alu instid0(VALU_DEP_2)
	v_add_f64 v[36:37], v[24:25], v[108:109]
	v_fma_f64 v[24:25], v[22:23], s[20:21], -v[18:19]
	v_mul_f64 v[18:19], v[52:53], s[48:49]
	s_clause 0x1
	scratch_store_b64 off, v[16:17], off offset:580
	scratch_store_b64 off, v[4:5], off offset:612
	v_fma_f64 v[4:5], v[20:21], s[8:9], v[4:5]
	v_add_f64 v[38:39], v[24:25], v[110:111]
	v_mul_f64 v[24:25], v[2:3], s[36:37]
	v_mul_f64 v[2:3], v[2:3], s[42:43]
	scratch_store_b64 off, v[18:19], off offset:596 ; 8-byte Folded Spill
	v_add_f64 v[4:5], v[4:5], v[108:109]
	v_fma_f64 v[26:27], v[20:21], s[22:23], -v[24:25]
	v_fma_f64 v[24:25], v[20:21], s[22:23], v[24:25]
	s_delay_alu instid0(VALU_DEP_2) | instskip(SKIP_1) | instid1(VALU_DEP_3)
	v_add_f64 v[40:41], v[26:27], v[108:109]
	v_mul_f64 v[26:27], v[0:1], s[36:37]
	v_add_f64 v[44:45], v[24:25], v[108:109]
	v_mul_f64 v[0:1], v[0:1], s[42:43]
	s_delay_alu instid0(VALU_DEP_3) | instskip(SKIP_2) | instid1(VALU_DEP_3)
	v_fma_f64 v[24:25], v[22:23], s[22:23], -v[26:27]
	v_fma_f64 v[42:43], v[22:23], s[22:23], v[26:27]
	v_add_f64 v[26:27], v[118:119], v[146:147]
	v_add_f64 v[46:47], v[24:25], v[110:111]
	v_fma_f64 v[24:25], v[20:21], s[24:25], -v[2:3]
	v_fma_f64 v[2:3], v[20:21], s[24:25], v[2:3]
	v_add_f64 v[42:43], v[42:43], v[110:111]
	s_delay_alu instid0(VALU_DEP_3) | instskip(SKIP_3) | instid1(VALU_DEP_3)
	v_add_f64 v[48:49], v[24:25], v[108:109]
	v_fma_f64 v[24:25], v[22:23], s[24:25], v[0:1]
	v_fma_f64 v[0:1], v[22:23], s[24:25], -v[0:1]
	v_add_f64 v[2:3], v[2:3], v[108:109]
	v_add_f64 v[50:51], v[24:25], v[110:111]
	;; [unrolled: 1-line block ×3, first 2 shown]
	s_delay_alu instid0(VALU_DEP_4) | instskip(NEXT) | instid1(VALU_DEP_2)
	v_add_f64 v[0:1], v[0:1], v[110:111]
	v_fma_f64 v[56:57], v[24:25], s[2:3], v[16:17]
	v_mul_f64 v[16:17], v[54:55], s[46:47]
	s_delay_alu instid0(VALU_DEP_2)
	v_add_f64 v[4:5], v[4:5], v[56:57]
	v_fma_f64 v[56:57], v[26:27], s[2:3], -v[18:19]
	v_mul_f64 v[18:19], v[52:53], s[46:47]
	scratch_store_b64 off, v[16:17], off offset:900 ; 8-byte Folded Spill
	v_add_f64 v[6:7], v[56:57], v[6:7]
	scratch_store_b64 off, v[18:19], off offset:908 ; 8-byte Folded Spill
	v_fma_f64 v[56:57], v[24:25], s[16:17], v[16:17]
	v_mul_f64 v[16:17], v[54:55], s[28:29]
	s_delay_alu instid0(VALU_DEP_2)
	v_add_f64 v[8:9], v[8:9], v[56:57]
	v_fma_f64 v[56:57], v[26:27], s[16:17], -v[18:19]
	v_mul_f64 v[18:19], v[52:53], s[28:29]
	scratch_store_b64 off, v[16:17], off offset:868 ; 8-byte Folded Spill
	v_add_f64 v[10:11], v[56:57], v[10:11]
	scratch_store_b64 off, v[18:19], off offset:884 ; 8-byte Folded Spill
	;; [unrolled: 9-line block ×3, first 2 shown]
	v_fma_f64 v[56:57], v[24:25], s[24:25], v[16:17]
	v_mul_f64 v[16:17], v[54:55], s[56:57]
	s_delay_alu instid0(VALU_DEP_2)
	v_add_f64 v[28:29], v[28:29], v[56:57]
	v_fma_f64 v[56:57], v[26:27], s[24:25], -v[18:19]
	v_mul_f64 v[18:19], v[52:53], s[56:57]
	scratch_store_b64 off, v[16:17], off offset:804 ; 8-byte Folded Spill
	v_add_f64 v[30:31], v[56:57], v[30:31]
	v_fma_f64 v[56:57], v[24:25], s[22:23], v[16:17]
	v_mul_f64 v[16:17], v[54:55], s[52:53]
	scratch_store_b64 off, v[18:19], off offset:820 ; 8-byte Folded Spill
	v_add_f64 v[32:33], v[32:33], v[56:57]
	v_fma_f64 v[56:57], v[26:27], s[22:23], -v[18:19]
	v_mul_f64 v[18:19], v[52:53], s[52:53]
	scratch_store_b64 off, v[16:17], off offset:948 ; 8-byte Folded Spill
	v_add_f64 v[34:35], v[56:57], v[34:35]
	scratch_store_b64 off, v[18:19], off offset:956 ; 8-byte Folded Spill
	v_fma_f64 v[56:57], v[24:25], s[18:19], v[16:17]
	s_delay_alu instid0(VALU_DEP_1) | instskip(SKIP_1) | instid1(VALU_DEP_1)
	v_add_f64 v[36:37], v[36:37], v[56:57]
	v_fma_f64 v[56:57], v[26:27], s[18:19], -v[18:19]
	v_add_f64 v[38:39], v[56:57], v[38:39]
	v_mul_f64 v[56:57], v[54:55], s[34:35]
	v_mul_f64 v[54:55], v[54:55], s[40:41]
	s_delay_alu instid0(VALU_DEP_2) | instskip(SKIP_1) | instid1(VALU_DEP_2)
	v_fma_f64 v[58:59], v[24:25], s[14:15], -v[56:57]
	v_fma_f64 v[56:57], v[24:25], s[14:15], v[56:57]
	v_add_f64 v[40:41], v[40:41], v[58:59]
	v_mul_f64 v[58:59], v[52:53], s[34:35]
	s_delay_alu instid0(VALU_DEP_3) | instskip(SKIP_1) | instid1(VALU_DEP_3)
	v_add_f64 v[44:45], v[44:45], v[56:57]
	v_mul_f64 v[52:53], v[52:53], s[40:41]
	v_fma_f64 v[56:57], v[26:27], s[14:15], -v[58:59]
	v_fma_f64 v[60:61], v[26:27], s[14:15], v[58:59]
	s_delay_alu instid0(VALU_DEP_2) | instskip(SKIP_2) | instid1(VALU_DEP_4)
	v_add_f64 v[46:47], v[56:57], v[46:47]
	v_fma_f64 v[56:57], v[24:25], s[8:9], -v[54:55]
	v_fma_f64 v[54:55], v[24:25], s[8:9], v[54:55]
	v_add_f64 v[42:43], v[60:61], v[42:43]
	v_add_f64 v[60:61], v[122:123], v[150:151]
	s_delay_alu instid0(VALU_DEP_4) | instskip(SKIP_4) | instid1(VALU_DEP_4)
	v_add_f64 v[48:49], v[48:49], v[56:57]
	v_fma_f64 v[56:57], v[26:27], s[8:9], v[52:53]
	v_fma_f64 v[52:53], v[26:27], s[8:9], -v[52:53]
	v_add_f64 v[2:3], v[2:3], v[54:55]
	v_add_f64 v[54:55], v[148:149], -v[120:121]
	v_add_f64 v[50:51], v[56:57], v[50:51]
	v_add_f64 v[56:57], v[150:151], -v[122:123]
	v_add_f64 v[0:1], v[52:53], v[0:1]
	v_add_f64 v[52:53], v[120:121], v[148:149]
	v_mul_f64 v[18:19], v[54:55], s[54:55]
	s_delay_alu instid0(VALU_DEP_4) | instskip(NEXT) | instid1(VALU_DEP_1)
	v_mul_f64 v[16:17], v[56:57], s[54:55]
	v_fma_f64 v[58:59], v[52:53], s[14:15], v[16:17]
	scratch_store_b64 off, v[16:17], off offset:916 ; 8-byte Folded Spill
	v_mul_f64 v[16:17], v[56:57], s[28:29]
	v_add_f64 v[4:5], v[58:59], v[4:5]
	v_fma_f64 v[58:59], v[60:61], s[14:15], -v[18:19]
	scratch_store_b64 off, v[16:17], off offset:1012 ; 8-byte Folded Spill
	v_add_f64 v[6:7], v[58:59], v[6:7]
	v_fma_f64 v[58:59], v[52:53], s[20:21], v[16:17]
	v_mul_f64 v[16:17], v[56:57], s[58:59]
	scratch_store_b64 off, v[18:19], off offset:940 ; 8-byte Folded Spill
	v_mul_f64 v[18:19], v[54:55], s[28:29]
	v_add_f64 v[8:9], v[58:59], v[8:9]
	s_delay_alu instid0(VALU_DEP_2)
	v_fma_f64 v[58:59], v[60:61], s[20:21], -v[18:19]
	scratch_store_b64 off, v[18:19], off offset:1020 ; 8-byte Folded Spill
	v_mul_f64 v[18:19], v[54:55], s[58:59]
	scratch_store_b64 off, v[16:17], off offset:996 ; 8-byte Folded Spill
	v_add_f64 v[10:11], v[58:59], v[10:11]
	v_fma_f64 v[58:59], v[52:53], s[24:25], v[16:17]
	scratch_store_b64 off, v[18:19], off offset:1004 ; 8-byte Folded Spill
	v_mul_f64 v[16:17], v[56:57], s[52:53]
	v_add_f64 v[12:13], v[58:59], v[12:13]
	v_fma_f64 v[58:59], v[60:61], s[24:25], -v[18:19]
	v_mul_f64 v[18:19], v[54:55], s[52:53]
	scratch_store_b64 off, v[16:17], off offset:980 ; 8-byte Folded Spill
	v_add_f64 v[14:15], v[58:59], v[14:15]
	scratch_store_b64 off, v[18:19], off offset:988 ; 8-byte Folded Spill
	v_fma_f64 v[58:59], v[52:53], s[18:19], v[16:17]
	v_mul_f64 v[16:17], v[56:57], s[38:39]
	s_delay_alu instid0(VALU_DEP_2)
	v_add_f64 v[28:29], v[58:59], v[28:29]
	v_fma_f64 v[58:59], v[60:61], s[18:19], -v[18:19]
	v_mul_f64 v[18:19], v[54:55], s[38:39]
	scratch_store_b64 off, v[16:17], off offset:964 ; 8-byte Folded Spill
	v_add_f64 v[30:31], v[58:59], v[30:31]
	v_fma_f64 v[58:59], v[52:53], s[2:3], v[16:17]
	v_mul_f64 v[16:17], v[56:57], s[44:45]
	scratch_store_b64 off, v[18:19], off offset:972 ; 8-byte Folded Spill
	v_add_f64 v[32:33], v[58:59], v[32:33]
	v_fma_f64 v[58:59], v[60:61], s[2:3], -v[18:19]
	v_mul_f64 v[18:19], v[54:55], s[44:45]
	scratch_store_b64 off, v[16:17], off offset:1044 ; 8-byte Folded Spill
	v_add_f64 v[34:35], v[58:59], v[34:35]
	scratch_store_b64 off, v[18:19], off offset:1052 ; 8-byte Folded Spill
	v_fma_f64 v[58:59], v[52:53], s[8:9], v[16:17]
	s_delay_alu instid0(VALU_DEP_1) | instskip(SKIP_1) | instid1(VALU_DEP_1)
	v_add_f64 v[36:37], v[58:59], v[36:37]
	v_fma_f64 v[58:59], v[60:61], s[8:9], -v[18:19]
	v_add_f64 v[38:39], v[58:59], v[38:39]
	v_mul_f64 v[58:59], v[56:57], s[46:47]
	v_mul_f64 v[56:57], v[56:57], s[36:37]
	s_delay_alu instid0(VALU_DEP_2) | instskip(SKIP_1) | instid1(VALU_DEP_2)
	v_fma_f64 v[62:63], v[52:53], s[16:17], -v[58:59]
	v_fma_f64 v[58:59], v[52:53], s[16:17], v[58:59]
	v_add_f64 v[40:41], v[62:63], v[40:41]
	v_mul_f64 v[62:63], v[54:55], s[46:47]
	s_delay_alu instid0(VALU_DEP_3) | instskip(SKIP_1) | instid1(VALU_DEP_3)
	v_add_f64 v[44:45], v[58:59], v[44:45]
	v_mul_f64 v[54:55], v[54:55], s[36:37]
	v_fma_f64 v[58:59], v[60:61], s[16:17], -v[62:63]
	v_fma_f64 v[64:65], v[60:61], s[16:17], v[62:63]
	s_delay_alu instid0(VALU_DEP_2) | instskip(SKIP_2) | instid1(VALU_DEP_4)
	v_add_f64 v[46:47], v[58:59], v[46:47]
	v_fma_f64 v[58:59], v[52:53], s[22:23], -v[56:57]
	v_fma_f64 v[56:57], v[52:53], s[22:23], v[56:57]
	v_add_f64 v[42:43], v[64:65], v[42:43]
	s_delay_alu instid0(VALU_DEP_3) | instskip(SKIP_1) | instid1(VALU_DEP_4)
	v_add_f64 v[48:49], v[58:59], v[48:49]
	v_fma_f64 v[58:59], v[60:61], s[22:23], v[54:55]
	v_add_f64 v[2:3], v[56:57], v[2:3]
	v_fma_f64 v[54:55], v[60:61], s[22:23], -v[54:55]
	v_add_f64 v[56:57], v[142:143], -v[126:127]
	s_delay_alu instid0(VALU_DEP_4) | instskip(NEXT) | instid1(VALU_DEP_3)
	v_add_f64 v[50:51], v[58:59], v[50:51]
	v_add_f64 v[0:1], v[54:55], v[0:1]
	v_add_f64 v[54:55], v[140:141], -v[124:125]
	s_delay_alu instid0(VALU_DEP_4) | instskip(NEXT) | instid1(VALU_DEP_2)
	v_mul_f64 v[16:17], v[56:57], s[46:47]
	v_mul_f64 v[18:19], v[54:55], s[46:47]
	s_delay_alu instid0(VALU_DEP_2)
	v_fma_f64 v[58:59], v[84:85], s[16:17], v[16:17]
	scratch_store_b64 off, v[16:17], off offset:1028 ; 8-byte Folded Spill
	v_mul_f64 v[16:17], v[56:57], s[42:43]
	v_add_f64 v[4:5], v[58:59], v[4:5]
	v_fma_f64 v[58:59], v[90:91], s[16:17], -v[18:19]
	scratch_store_b64 off, v[16:17], off offset:1108 ; 8-byte Folded Spill
	v_add_f64 v[6:7], v[58:59], v[6:7]
	v_fma_f64 v[58:59], v[84:85], s[24:25], v[16:17]
	v_mul_f64 v[16:17], v[56:57], s[52:53]
	scratch_store_b64 off, v[18:19], off offset:1036 ; 8-byte Folded Spill
	v_mul_f64 v[18:19], v[54:55], s[42:43]
	v_add_f64 v[8:9], v[58:59], v[8:9]
	s_delay_alu instid0(VALU_DEP_2)
	v_fma_f64 v[58:59], v[90:91], s[24:25], -v[18:19]
	scratch_store_b64 off, v[18:19], off offset:1116 ; 8-byte Folded Spill
	v_mul_f64 v[18:19], v[54:55], s[52:53]
	scratch_store_b64 off, v[16:17], off offset:1092 ; 8-byte Folded Spill
	v_add_f64 v[10:11], v[58:59], v[10:11]
	v_fma_f64 v[58:59], v[84:85], s[18:19], v[16:17]
	scratch_store_b64 off, v[18:19], off offset:1100 ; 8-byte Folded Spill
	v_mul_f64 v[16:17], v[56:57], s[40:41]
	v_add_f64 v[12:13], v[58:59], v[12:13]
	v_fma_f64 v[58:59], v[90:91], s[18:19], -v[18:19]
	v_mul_f64 v[18:19], v[54:55], s[40:41]
	scratch_store_b64 off, v[16:17], off offset:1076 ; 8-byte Folded Spill
	v_add_f64 v[14:15], v[58:59], v[14:15]
	scratch_store_b64 off, v[18:19], off offset:1084 ; 8-byte Folded Spill
	v_fma_f64 v[58:59], v[84:85], s[8:9], v[16:17]
	v_mul_f64 v[16:17], v[56:57], s[54:55]
	s_delay_alu instid0(VALU_DEP_2)
	v_add_f64 v[28:29], v[58:59], v[28:29]
	v_fma_f64 v[58:59], v[90:91], s[8:9], -v[18:19]
	v_mul_f64 v[18:19], v[54:55], s[54:55]
	scratch_store_b64 off, v[16:17], off offset:1060 ; 8-byte Folded Spill
	v_add_f64 v[30:31], v[58:59], v[30:31]
	v_fma_f64 v[58:59], v[84:85], s[14:15], v[16:17]
	v_mul_f64 v[16:17], v[56:57], s[36:37]
	scratch_store_b64 off, v[18:19], off offset:1068 ; 8-byte Folded Spill
	v_add_f64 v[32:33], v[58:59], v[32:33]
	v_fma_f64 v[58:59], v[90:91], s[14:15], -v[18:19]
	v_mul_f64 v[18:19], v[54:55], s[36:37]
	scratch_store_b64 off, v[16:17], off offset:1140 ; 8-byte Folded Spill
	v_add_f64 v[34:35], v[58:59], v[34:35]
	scratch_store_b64 off, v[18:19], off offset:1148 ; 8-byte Folded Spill
	v_fma_f64 v[58:59], v[84:85], s[22:23], v[16:17]
	s_delay_alu instid0(VALU_DEP_1) | instskip(SKIP_1) | instid1(VALU_DEP_1)
	v_add_f64 v[36:37], v[58:59], v[36:37]
	v_fma_f64 v[58:59], v[90:91], s[22:23], -v[18:19]
	v_add_f64 v[38:39], v[58:59], v[38:39]
	v_mul_f64 v[58:59], v[56:57], s[50:51]
	v_mul_f64 v[56:57], v[56:57], s[38:39]
	s_delay_alu instid0(VALU_DEP_2) | instskip(SKIP_1) | instid1(VALU_DEP_2)
	v_fma_f64 v[62:63], v[84:85], s[20:21], -v[58:59]
	v_fma_f64 v[58:59], v[84:85], s[20:21], v[58:59]
	v_add_f64 v[40:41], v[62:63], v[40:41]
	v_mul_f64 v[62:63], v[54:55], s[50:51]
	s_delay_alu instid0(VALU_DEP_3) | instskip(SKIP_1) | instid1(VALU_DEP_3)
	v_add_f64 v[44:45], v[58:59], v[44:45]
	v_mul_f64 v[54:55], v[54:55], s[38:39]
	v_fma_f64 v[58:59], v[90:91], s[20:21], -v[62:63]
	v_fma_f64 v[64:65], v[90:91], s[20:21], v[62:63]
	s_delay_alu instid0(VALU_DEP_2) | instskip(SKIP_2) | instid1(VALU_DEP_4)
	v_add_f64 v[46:47], v[58:59], v[46:47]
	v_fma_f64 v[58:59], v[84:85], s[2:3], -v[56:57]
	v_fma_f64 v[56:57], v[84:85], s[2:3], v[56:57]
	v_add_f64 v[42:43], v[64:65], v[42:43]
	s_delay_alu instid0(VALU_DEP_3) | instskip(SKIP_1) | instid1(VALU_DEP_4)
	v_add_f64 v[48:49], v[58:59], v[48:49]
	v_fma_f64 v[58:59], v[90:91], s[2:3], v[54:55]
	v_add_f64 v[2:3], v[56:57], v[2:3]
	v_fma_f64 v[54:55], v[90:91], s[2:3], -v[54:55]
	v_add_f64 v[56:57], v[80:81], -v[130:131]
	s_delay_alu instid0(VALU_DEP_4) | instskip(NEXT) | instid1(VALU_DEP_3)
	v_add_f64 v[50:51], v[58:59], v[50:51]
	v_add_f64 v[0:1], v[54:55], v[0:1]
	v_add_f64 v[54:55], v[78:79], -v[128:129]
	s_delay_alu instid0(VALU_DEP_4) | instskip(NEXT) | instid1(VALU_DEP_2)
	v_mul_f64 v[16:17], v[56:57], s[26:27]
	v_mul_f64 v[18:19], v[54:55], s[26:27]
	s_delay_alu instid0(VALU_DEP_2)
	v_fma_f64 v[58:59], v[246:247], s[18:19], v[16:17]
	scratch_store_b64 off, v[16:17], off offset:1124 ; 8-byte Folded Spill
	v_mul_f64 v[16:17], v[56:57], s[56:57]
	v_add_f64 v[4:5], v[58:59], v[4:5]
	v_fma_f64 v[58:59], v[248:249], s[18:19], -v[18:19]
	scratch_store_b64 off, v[16:17], off offset:1204 ; 8-byte Folded Spill
	v_add_f64 v[6:7], v[58:59], v[6:7]
	v_fma_f64 v[58:59], v[246:247], s[22:23], v[16:17]
	v_mul_f64 v[16:17], v[56:57], s[38:39]
	scratch_store_b64 off, v[18:19], off offset:1132 ; 8-byte Folded Spill
	v_mul_f64 v[18:19], v[54:55], s[56:57]
	v_add_f64 v[8:9], v[58:59], v[8:9]
	s_delay_alu instid0(VALU_DEP_2)
	v_fma_f64 v[58:59], v[248:249], s[22:23], -v[18:19]
	scratch_store_b64 off, v[18:19], off offset:1212 ; 8-byte Folded Spill
	v_mul_f64 v[18:19], v[54:55], s[38:39]
	scratch_store_b64 off, v[16:17], off offset:1188 ; 8-byte Folded Spill
	v_add_f64 v[10:11], v[58:59], v[10:11]
	v_fma_f64 v[58:59], v[246:247], s[2:3], v[16:17]
	scratch_store_b64 off, v[18:19], off offset:1196 ; 8-byte Folded Spill
	v_mul_f64 v[16:17], v[56:57], s[54:55]
	v_add_f64 v[12:13], v[58:59], v[12:13]
	v_fma_f64 v[58:59], v[248:249], s[2:3], -v[18:19]
	v_mul_f64 v[18:19], v[54:55], s[54:55]
	scratch_store_b64 off, v[16:17], off offset:1172 ; 8-byte Folded Spill
	v_add_f64 v[14:15], v[58:59], v[14:15]
	scratch_store_b64 off, v[18:19], off offset:1180 ; 8-byte Folded Spill
	v_fma_f64 v[58:59], v[246:247], s[14:15], v[16:17]
	v_mul_f64 v[16:17], v[56:57], s[42:43]
	s_delay_alu instid0(VALU_DEP_2)
	v_add_f64 v[28:29], v[58:59], v[28:29]
	v_fma_f64 v[58:59], v[248:249], s[14:15], -v[18:19]
	v_mul_f64 v[18:19], v[54:55], s[42:43]
	scratch_store_b64 off, v[16:17], off offset:1156 ; 8-byte Folded Spill
	v_add_f64 v[30:31], v[58:59], v[30:31]
	v_fma_f64 v[58:59], v[246:247], s[24:25], v[16:17]
	v_mul_f64 v[16:17], v[56:57], s[30:31]
	scratch_store_b64 off, v[18:19], off offset:1164 ; 8-byte Folded Spill
	v_add_f64 v[32:33], v[58:59], v[32:33]
	v_fma_f64 v[58:59], v[248:249], s[24:25], -v[18:19]
	v_mul_f64 v[18:19], v[54:55], s[30:31]
	scratch_store_b64 off, v[16:17], off offset:1236 ; 8-byte Folded Spill
	v_add_f64 v[34:35], v[58:59], v[34:35]
	scratch_store_b64 off, v[18:19], off offset:1244 ; 8-byte Folded Spill
	v_fma_f64 v[58:59], v[246:247], s[16:17], v[16:17]
	s_delay_alu instid0(VALU_DEP_1) | instskip(SKIP_1) | instid1(VALU_DEP_1)
	v_add_f64 v[36:37], v[58:59], v[36:37]
	v_fma_f64 v[58:59], v[248:249], s[16:17], -v[18:19]
	v_add_f64 v[38:39], v[58:59], v[38:39]
	v_mul_f64 v[58:59], v[56:57], s[44:45]
	s_delay_alu instid0(VALU_DEP_1) | instskip(NEXT) | instid1(VALU_DEP_1)
	v_fma_f64 v[62:63], v[246:247], s[8:9], -v[58:59]
	v_add_f64 v[40:41], v[62:63], v[40:41]
	v_mul_f64 v[62:63], v[54:55], s[44:45]
	s_delay_alu instid0(VALU_DEP_1) | instskip(NEXT) | instid1(VALU_DEP_1)
	v_fma_f64 v[64:65], v[248:249], s[8:9], v[62:63]
	v_add_f64 v[64:65], v[64:65], v[42:43]
	v_fma_f64 v[42:43], v[246:247], s[8:9], v[58:59]
	s_delay_alu instid0(VALU_DEP_1) | instskip(SKIP_1) | instid1(VALU_DEP_1)
	v_add_f64 v[58:59], v[42:43], v[44:45]
	v_fma_f64 v[42:43], v[248:249], s[8:9], -v[62:63]
	v_add_f64 v[46:47], v[42:43], v[46:47]
	v_mul_f64 v[42:43], v[56:57], s[28:29]
	v_add_f64 v[56:57], v[154:155], -v[134:135]
	s_delay_alu instid0(VALU_DEP_2) | instskip(SKIP_1) | instid1(VALU_DEP_3)
	v_fma_f64 v[44:45], v[246:247], s[20:21], -v[42:43]
	v_fma_f64 v[42:43], v[246:247], s[20:21], v[42:43]
	v_mul_f64 v[16:17], v[56:57], s[28:29]
	v_mul_f64 v[228:229], v[56:57], s[52:53]
	;; [unrolled: 1-line block ×5, first 2 shown]
	v_add_f64 v[48:49], v[44:45], v[48:49]
	v_mul_f64 v[44:45], v[54:55], s[28:29]
	v_add_f64 v[2:3], v[42:43], v[2:3]
	s_delay_alu instid0(VALU_DEP_2) | instskip(SKIP_2) | instid1(VALU_DEP_3)
	v_fma_f64 v[54:55], v[248:249], s[20:21], v[44:45]
	v_fma_f64 v[42:43], v[248:249], s[20:21], -v[44:45]
	v_add_f64 v[44:45], v[154:155], v[134:135]
	v_add_f64 v[50:51], v[54:55], v[50:51]
	s_delay_alu instid0(VALU_DEP_3) | instskip(SKIP_2) | instid1(VALU_DEP_2)
	v_add_f64 v[0:1], v[42:43], v[0:1]
	v_add_f64 v[42:43], v[152:153], v[132:133]
	v_add_f64 v[54:55], v[152:153], -v[132:133]
	v_fma_f64 v[62:63], v[42:43], s[20:21], v[16:17]
	s_delay_alu instid0(VALU_DEP_2)
	v_mul_f64 v[18:19], v[54:55], s[28:29]
	v_mul_f64 v[230:231], v[54:55], s[52:53]
	;; [unrolled: 1-line block ×5, first 2 shown]
	scratch_store_b64 off, v[16:17], off offset:1220 ; 8-byte Folded Spill
	v_add_f64 v[4:5], v[62:63], v[4:5]
	scratch_store_b64 off, v[18:19], off offset:1228 ; 8-byte Folded Spill
	v_fma_f64 v[62:63], v[44:45], s[20:21], -v[18:19]
	s_delay_alu instid0(VALU_DEP_1) | instskip(SKIP_1) | instid1(VALU_DEP_1)
	v_add_f64 v[6:7], v[62:63], v[6:7]
	v_fma_f64 v[62:63], v[42:43], s[18:19], v[228:229]
	v_add_f64 v[62:63], v[62:63], v[8:9]
	v_fma_f64 v[8:9], v[44:45], s[18:19], -v[230:231]
	s_delay_alu instid0(VALU_DEP_1) | instskip(SKIP_1) | instid1(VALU_DEP_1)
	v_add_f64 v[10:11], v[8:9], v[10:11]
	v_fma_f64 v[8:9], v[42:43], s[8:9], v[224:225]
	v_add_f64 v[66:67], v[8:9], v[12:13]
	v_fma_f64 v[8:9], v[44:45], s[8:9], -v[226:227]
	v_mul_f64 v[12:13], v[56:57], s[30:31]
	v_mov_b32_e32 v165, v214
	s_delay_alu instid0(VALU_DEP_3) | instskip(SKIP_1) | instid1(VALU_DEP_4)
	v_add_f64 v[14:15], v[8:9], v[14:15]
	v_fma_f64 v[8:9], v[42:43], s[22:23], v[82:83]
	v_dual_mov_b32 v213, v13 :: v_dual_mov_b32 v212, v12
	s_delay_alu instid0(VALU_DEP_2) | instskip(SKIP_2) | instid1(VALU_DEP_2)
	v_add_f64 v[68:69], v[8:9], v[28:29]
	v_fma_f64 v[8:9], v[44:45], s[22:23], -v[86:87]
	v_fma_f64 v[28:29], v[42:43], s[16:17], v[12:13]
	v_add_f64 v[88:89], v[8:9], v[30:31]
	v_mul_f64 v[8:9], v[54:55], s[30:31]
	s_delay_alu instid0(VALU_DEP_3) | instskip(NEXT) | instid1(VALU_DEP_2)
	v_add_f64 v[32:33], v[28:29], v[32:33]
	v_fma_f64 v[28:29], v[44:45], s[16:17], -v[8:9]
	s_delay_alu instid0(VALU_DEP_1) | instskip(SKIP_1) | instid1(VALU_DEP_1)
	v_add_f64 v[34:35], v[28:29], v[34:35]
	v_fma_f64 v[28:29], v[42:43], s[2:3], v[238:239]
	v_add_f64 v[92:93], v[28:29], v[36:37]
	v_fma_f64 v[28:29], v[44:45], s[2:3], -v[242:243]
	s_delay_alu instid0(VALU_DEP_1) | instskip(SKIP_2) | instid1(VALU_DEP_2)
	v_add_f64 v[94:95], v[28:29], v[38:39]
	v_mul_f64 v[28:29], v[56:57], s[42:43]
	v_mul_f64 v[38:39], v[102:103], s[42:43]
	v_fma_f64 v[30:31], v[42:43], s[24:25], -v[28:29]
	v_fma_f64 v[28:29], v[42:43], s[24:25], v[28:29]
	s_delay_alu instid0(VALU_DEP_2) | instskip(SKIP_1) | instid1(VALU_DEP_3)
	v_add_f64 v[40:41], v[30:31], v[40:41]
	v_mul_f64 v[30:31], v[54:55], s[42:43]
	v_add_f64 v[58:59], v[28:29], v[58:59]
	s_delay_alu instid0(VALU_DEP_2) | instskip(SKIP_1) | instid1(VALU_DEP_2)
	v_fma_f64 v[28:29], v[44:45], s[24:25], -v[30:31]
	v_fma_f64 v[36:37], v[44:45], s[24:25], v[30:31]
	v_add_f64 v[46:47], v[28:29], v[46:47]
	v_mul_f64 v[28:29], v[56:57], s[34:35]
	s_delay_alu instid0(VALU_DEP_3) | instskip(NEXT) | instid1(VALU_DEP_2)
	v_add_f64 v[64:65], v[36:37], v[64:65]
	v_fma_f64 v[30:31], v[42:43], s[14:15], -v[28:29]
	v_fma_f64 v[28:29], v[42:43], s[14:15], v[28:29]
	s_delay_alu instid0(VALU_DEP_2) | instskip(SKIP_1) | instid1(VALU_DEP_3)
	v_add_f64 v[48:49], v[30:31], v[48:49]
	v_mul_f64 v[30:31], v[54:55], s[34:35]
	v_add_f64 v[54:55], v[28:29], v[2:3]
	v_mul_f64 v[28:29], v[100:101], s[34:35]
	s_delay_alu instid0(VALU_DEP_3) | instskip(SKIP_2) | instid1(VALU_DEP_3)
	v_fma_f64 v[2:3], v[44:45], s[14:15], -v[30:31]
	v_fma_f64 v[36:37], v[44:45], s[14:15], v[30:31]
	v_mul_f64 v[30:31], v[102:103], s[34:35]
	v_add_f64 v[56:57], v[2:3], v[0:1]
	v_fma_f64 v[0:1], v[74:75], s[22:23], v[232:233]
	v_mul_f64 v[2:3], v[102:103], s[46:47]
	v_add_f64 v[50:51], v[36:37], v[50:51]
	v_mul_f64 v[36:37], v[100:101], s[42:43]
	s_delay_alu instid0(VALU_DEP_4) | instskip(SKIP_1) | instid1(VALU_DEP_1)
	v_add_f64 v[4:5], v[0:1], v[4:5]
	v_fma_f64 v[0:1], v[76:77], s[22:23], -v[234:235]
	v_add_f64 v[70:71], v[0:1], v[6:7]
	v_fma_f64 v[0:1], v[74:75], s[14:15], v[28:29]
	s_delay_alu instid0(VALU_DEP_1) | instskip(SKIP_1) | instid1(VALU_DEP_1)
	v_add_f64 v[62:63], v[0:1], v[62:63]
	v_fma_f64 v[0:1], v[76:77], s[14:15], -v[30:31]
	v_add_f64 v[72:73], v[0:1], v[10:11]
	v_mul_f64 v[0:1], v[100:101], s[46:47]
	s_delay_alu instid0(VALU_DEP_1) | instskip(NEXT) | instid1(VALU_DEP_1)
	v_fma_f64 v[6:7], v[74:75], s[16:17], v[0:1]
	v_add_f64 v[16:17], v[6:7], v[66:67]
	v_fma_f64 v[6:7], v[76:77], s[16:17], -v[2:3]
	s_delay_alu instid0(VALU_DEP_1) | instskip(SKIP_1) | instid1(VALU_DEP_1)
	v_add_f64 v[14:15], v[6:7], v[14:15]
	v_fma_f64 v[6:7], v[74:75], s[20:21], v[252:253]
	v_add_f64 v[18:19], v[6:7], v[68:69]
	v_fma_f64 v[6:7], v[76:77], s[20:21], -v[254:255]
	s_delay_alu instid0(VALU_DEP_1) | instskip(SKIP_2) | instid1(VALU_DEP_2)
	v_add_f64 v[12:13], v[6:7], v[88:89]
	v_fma_f64 v[6:7], v[74:75], s[8:9], v[244:245]
	v_add_f64 v[88:89], v[170:171], -v[174:175]
	v_add_f64 v[10:11], v[6:7], v[32:33]
	v_fma_f64 v[32:33], v[74:75], s[24:25], v[36:37]
	v_fma_f64 v[6:7], v[76:77], s[8:9], -v[250:251]
	s_delay_alu instid0(VALU_DEP_2) | instskip(SKIP_1) | instid1(VALU_DEP_3)
	v_add_f64 v[68:69], v[32:33], v[92:93]
	v_fma_f64 v[32:33], v[76:77], s[24:25], -v[38:39]
	v_add_f64 v[6:7], v[6:7], v[34:35]
	s_delay_alu instid0(VALU_DEP_2) | instskip(SKIP_1) | instid1(VALU_DEP_1)
	v_add_f64 v[66:67], v[32:33], v[94:95]
	v_mul_f64 v[32:33], v[100:101], s[38:39]
	v_fma_f64 v[34:35], v[74:75], s[2:3], -v[32:33]
	v_fma_f64 v[32:33], v[74:75], s[2:3], v[32:33]
	s_delay_alu instid0(VALU_DEP_2) | instskip(SKIP_1) | instid1(VALU_DEP_3)
	v_add_f64 v[106:107], v[34:35], v[40:41]
	v_mul_f64 v[34:35], v[102:103], s[38:39]
	v_add_f64 v[96:97], v[32:33], v[58:59]
	v_mul_f64 v[58:59], v[88:89], s[28:29]
	s_delay_alu instid0(VALU_DEP_3) | instskip(SKIP_1) | instid1(VALU_DEP_2)
	v_fma_f64 v[32:33], v[76:77], s[2:3], -v[34:35]
	v_fma_f64 v[40:41], v[76:77], s[2:3], v[34:35]
	v_add_f64 v[98:99], v[32:33], v[46:47]
	v_mul_f64 v[32:33], v[100:101], s[26:27]
	s_delay_alu instid0(VALU_DEP_3) | instskip(SKIP_1) | instid1(VALU_DEP_3)
	v_add_f64 v[64:65], v[40:41], v[64:65]
	v_mul_f64 v[46:47], v[104:105], s[40:41]
	v_fma_f64 v[34:35], v[74:75], s[18:19], -v[32:33]
	v_fma_f64 v[32:33], v[74:75], s[18:19], v[32:33]
	s_delay_alu instid0(VALU_DEP_2) | instskip(SKIP_1) | instid1(VALU_DEP_3)
	v_add_f64 v[100:101], v[34:35], v[48:49]
	v_mul_f64 v[34:35], v[102:103], s[26:27]
	v_add_f64 v[94:95], v[32:33], v[54:55]
	v_mul_f64 v[48:49], v[88:89], s[36:37]
	s_delay_alu instid0(VALU_DEP_3) | instskip(SKIP_2) | instid1(VALU_DEP_3)
	v_fma_f64 v[32:33], v[76:77], s[18:19], -v[34:35]
	v_fma_f64 v[40:41], v[76:77], s[18:19], v[34:35]
	v_mul_f64 v[34:35], v[104:105], s[42:43]
	v_add_f64 v[92:93], v[32:33], v[56:57]
	v_mul_f64 v[32:33], v[88:89], s[42:43]
	s_delay_alu instid0(VALU_DEP_4) | instskip(SKIP_1) | instid1(VALU_DEP_3)
	v_add_f64 v[102:103], v[40:41], v[50:51]
	v_mul_f64 v[50:51], v[104:105], s[36:37]
	v_fma_f64 v[40:41], v[236:237], s[24:25], v[32:33]
	s_delay_alu instid0(VALU_DEP_1) | instskip(SKIP_2) | instid1(VALU_DEP_2)
	v_add_f64 v[214:215], v[40:41], v[4:5]
	v_fma_f64 v[4:5], v[240:241], s[24:25], -v[34:35]
	v_mul_f64 v[40:41], v[88:89], s[40:41]
	v_add_f64 v[216:217], v[4:5], v[70:71]
	s_delay_alu instid0(VALU_DEP_2) | instskip(NEXT) | instid1(VALU_DEP_1)
	v_fma_f64 v[4:5], v[236:237], s[8:9], v[40:41]
	v_add_f64 v[70:71], v[4:5], v[62:63]
	v_fma_f64 v[4:5], v[240:241], s[8:9], -v[46:47]
	v_mul_f64 v[62:63], v[104:105], s[34:35]
	s_delay_alu instid0(VALU_DEP_2) | instskip(SKIP_1) | instid1(VALU_DEP_1)
	v_add_f64 v[72:73], v[4:5], v[72:73]
	v_fma_f64 v[4:5], v[236:237], s[22:23], v[48:49]
	v_add_f64 v[54:55], v[4:5], v[16:17]
	v_fma_f64 v[4:5], v[240:241], s[22:23], -v[50:51]
	s_delay_alu instid0(VALU_DEP_1) | instskip(SKIP_3) | instid1(VALU_DEP_2)
	v_add_f64 v[56:57], v[4:5], v[14:15]
	scratch_store_b128 off, v[54:57], off offset:4 ; 16-byte Folded Spill
	v_mul_f64 v[54:55], v[88:89], s[38:39]
	v_mul_f64 v[56:57], v[104:105], s[38:39]
	v_fma_f64 v[4:5], v[236:237], s[2:3], v[54:55]
	s_delay_alu instid0(VALU_DEP_1) | instskip(NEXT) | instid1(VALU_DEP_3)
	v_add_f64 v[14:15], v[4:5], v[18:19]
	v_fma_f64 v[4:5], v[240:241], s[2:3], -v[56:57]
	s_delay_alu instid0(VALU_DEP_1)
	v_add_f64 v[16:17], v[4:5], v[12:13]
	v_mul_f64 v[4:5], v[104:105], s[28:29]
	v_fma_f64 v[12:13], v[236:237], s[20:21], v[58:59]
	scratch_store_b128 off, v[14:17], off offset:20 ; 16-byte Folded Spill
	v_add_f64 v[12:13], v[12:13], v[10:11]
	v_fma_f64 v[10:11], v[240:241], s[20:21], -v[4:5]
	s_delay_alu instid0(VALU_DEP_1) | instskip(SKIP_3) | instid1(VALU_DEP_1)
	v_add_f64 v[14:15], v[10:11], v[6:7]
	v_mul_f64 v[6:7], v[88:89], s[34:35]
	scratch_store_b128 off, v[12:15], off offset:36 ; 16-byte Folded Spill
	v_fma_f64 v[10:11], v[236:237], s[14:15], v[6:7]
	v_add_f64 v[12:13], v[10:11], v[68:69]
	v_fma_f64 v[10:11], v[240:241], s[14:15], -v[62:63]
	s_delay_alu instid0(VALU_DEP_1) | instskip(SKIP_4) | instid1(VALU_DEP_2)
	v_add_f64 v[14:15], v[10:11], v[66:67]
	v_mul_f64 v[10:11], v[88:89], s[26:27]
	scratch_store_b128 off, v[12:15], off offset:52 ; 16-byte Folded Spill
	v_fma_f64 v[12:13], v[236:237], s[18:19], -v[10:11]
	v_fma_f64 v[10:11], v[236:237], s[18:19], v[10:11]
	v_add_f64 v[16:17], v[12:13], v[106:107]
	v_mul_f64 v[12:13], v[104:105], s[26:27]
	s_delay_alu instid0(VALU_DEP_1) | instskip(NEXT) | instid1(VALU_DEP_1)
	v_fma_f64 v[14:15], v[240:241], s[18:19], v[12:13]
	v_add_f64 v[18:19], v[14:15], v[64:65]
	v_add_f64 v[14:15], v[10:11], v[96:97]
	v_fma_f64 v[10:11], v[240:241], s[18:19], -v[12:13]
	scratch_store_b128 off, v[16:19], off offset:68 ; 16-byte Folded Spill
	v_add_f64 v[16:17], v[10:11], v[98:99]
	v_mul_f64 v[10:11], v[88:89], s[30:31]
	scratch_store_b128 off, v[14:17], off offset:84 ; 16-byte Folded Spill
	v_fma_f64 v[12:13], v[236:237], s[16:17], -v[10:11]
	v_fma_f64 v[10:11], v[236:237], s[16:17], v[10:11]
	s_delay_alu instid0(VALU_DEP_2) | instskip(SKIP_1) | instid1(VALU_DEP_1)
	v_add_f64 v[16:17], v[12:13], v[100:101]
	v_mul_f64 v[12:13], v[104:105], s[30:31]
	v_fma_f64 v[14:15], v[240:241], s[16:17], v[12:13]
	s_delay_alu instid0(VALU_DEP_1)
	v_add_f64 v[18:19], v[14:15], v[102:103]
	v_add_f64 v[14:15], v[10:11], v[94:95]
	v_fma_f64 v[10:11], v[240:241], s[16:17], -v[12:13]
	scratch_store_b128 off, v[16:19], off offset:100 ; 16-byte Folded Spill
	v_add_f64 v[16:17], v[10:11], v[92:93]
	v_mul_lo_u16 v10, v165, 17
	v_lshlrev_b32_e32 v11, 4, v218
	s_delay_alu instid0(VALU_DEP_2)
	v_and_b32_e32 v10, 0xffff, v10
	scratch_store_b128 off, v[14:17], off offset:116 ; 16-byte Folded Spill
	s_waitcnt_vscnt null, 0x0
	s_barrier
	buffer_gl0_inv
	scratch_load_b128 v[12:15], off, off offset:468 ; 16-byte Folded Reload
	s_clause 0x1
	scratch_store_b32 off, v165, off
	scratch_store_b32 off, v218, off offset:932
	v_lshl_add_u32 v165, v10, 4, v11
	v_mul_u32_u24_e32 v218, 17, v166
	s_waitcnt vmcnt(0)
	ds_store_b128 v165, v[12:15]
	scratch_load_b128 v[12:15], off, off offset:500 ; 16-byte Folded Reload
	s_waitcnt vmcnt(0)
	ds_store_b128 v165, v[12:15] offset:16
	scratch_load_b128 v[12:15], off, off offset:532 ; 16-byte Folded Reload
	s_waitcnt vmcnt(0)
	ds_store_b128 v165, v[12:15] offset:32
	;; [unrolled: 3-line block ×3, first 2 shown]
	ds_store_b128 v165, v[188:191] offset:64
	ds_store_b128 v165, v[196:199] offset:80
	ds_store_b128 v165, v[200:203] offset:96
	ds_store_b128 v165, v[208:211] offset:112
	ds_store_b128 v165, v[180:183] offset:128
	ds_store_b128 v165, v[220:223] offset:144
	ds_store_b128 v165, v[176:179] offset:160
	ds_store_b128 v165, v[204:207] offset:176
	ds_store_b128 v165, v[192:195] offset:192
	ds_store_b128 v165, v[184:187] offset:208
	scratch_load_b128 v[12:15], off, off offset:548 ; 16-byte Folded Reload
	v_dual_mov_b32 v222, v73 :: v_dual_mov_b32 v221, v72
	v_dual_mov_b32 v220, v71 :: v_dual_mov_b32 v219, v70
	v_mov_b32_e32 v166, v11
	s_waitcnt vmcnt(0)
	ds_store_b128 v165, v[12:15] offset:224
	scratch_load_b128 v[12:15], off, off offset:516 ; 16-byte Folded Reload
	s_waitcnt vmcnt(0)
	ds_store_b128 v165, v[12:15] offset:240
	scratch_load_b128 v[12:15], off, off offset:484 ; 16-byte Folded Reload
	s_waitcnt vmcnt(0)
	ds_store_b128 v165, v[12:15] offset:256
	s_and_saveexec_b32 s26, vcc_lo
	s_cbranch_execz .LBB0_7
; %bb.6:
	v_add_f64 v[12:13], v[136:137], v[108:109]
	v_add_f64 v[10:11], v[138:139], v[110:111]
	s_clause 0xd
	scratch_load_b64 v[64:65], off, off offset:756
	scratch_load_b64 v[66:67], off, off offset:740
	;; [unrolled: 1-line block ×14, first 2 shown]
	v_add_f64 v[12:13], v[144:145], v[12:13]
	v_add_f64 v[10:11], v[146:147], v[10:11]
	s_delay_alu instid0(VALU_DEP_2) | instskip(NEXT) | instid1(VALU_DEP_2)
	v_add_f64 v[12:13], v[148:149], v[12:13]
	v_add_f64 v[10:11], v[150:151], v[10:11]
	s_delay_alu instid0(VALU_DEP_2) | instskip(NEXT) | instid1(VALU_DEP_2)
	;; [unrolled: 3-line block ×3, first 2 shown]
	v_add_f64 v[12:13], v[78:79], v[12:13]
	v_add_f64 v[10:11], v[80:81], v[10:11]
	s_clause 0x1
	scratch_load_b64 v[78:79], off, off offset:676
	scratch_load_b64 v[80:81], off, off offset:660
	v_add_f64 v[12:13], v[152:153], v[12:13]
	v_add_f64 v[10:11], v[154:155], v[10:11]
	s_delay_alu instid0(VALU_DEP_2) | instskip(NEXT) | instid1(VALU_DEP_2)
	v_add_f64 v[12:13], v[160:161], v[12:13]
	v_add_f64 v[10:11], v[162:163], v[10:11]
	s_delay_alu instid0(VALU_DEP_2) | instskip(NEXT) | instid1(VALU_DEP_2)
	;; [unrolled: 3-line block ×9, first 2 shown]
	v_add_f64 v[12:13], v[116:117], v[12:13]
	v_add_f64 v[10:11], v[118:119], v[10:11]
	s_delay_alu instid0(VALU_DEP_2) | instskip(SKIP_4) | instid1(VALU_DEP_1)
	v_add_f64 v[14:15], v[112:113], v[12:13]
	scratch_load_b64 v[12:13], off, off offset:788 ; 8-byte Folded Reload
	v_add_f64 v[16:17], v[114:115], v[10:11]
	v_mul_f64 v[10:11], v[22:23], s[20:21]
	s_waitcnt vmcnt(0)
	v_add_f64 v[10:11], v[12:13], v[10:11]
	v_mul_f64 v[12:13], v[20:21], s[20:21]
	s_delay_alu instid0(VALU_DEP_2) | instskip(NEXT) | instid1(VALU_DEP_2)
	v_add_f64 v[10:11], v[10:11], v[110:111]
	v_add_f64 v[12:13], v[12:13], -v[18:19]
	v_mul_f64 v[18:19], v[22:23], s[18:19]
	s_delay_alu instid0(VALU_DEP_2) | instskip(NEXT) | instid1(VALU_DEP_2)
	v_add_f64 v[12:13], v[12:13], v[108:109]
	v_add_f64 v[18:19], v[64:65], v[18:19]
	v_mul_f64 v[64:65], v[20:21], s[18:19]
	s_delay_alu instid0(VALU_DEP_1) | instskip(SKIP_1) | instid1(VALU_DEP_2)
	v_add_f64 v[64:65], v[64:65], -v[66:67]
	v_mul_f64 v[66:67], v[22:23], s[16:17]
	v_add_f64 v[64:65], v[64:65], v[108:109]
	s_delay_alu instid0(VALU_DEP_2) | instskip(SKIP_1) | instid1(VALU_DEP_2)
	v_add_f64 v[66:67], v[68:69], v[66:67]
	v_mul_f64 v[68:69], v[20:21], s[16:17]
	v_add_f64 v[66:67], v[66:67], v[110:111]
	s_delay_alu instid0(VALU_DEP_2) | instskip(SKIP_1) | instid1(VALU_DEP_2)
	v_add_f64 v[68:69], v[68:69], -v[70:71]
	v_mul_f64 v[70:71], v[22:23], s[14:15]
	v_add_f64 v[68:69], v[68:69], v[108:109]
	s_delay_alu instid0(VALU_DEP_2) | instskip(SKIP_1) | instid1(VALU_DEP_2)
	v_add_f64 v[70:71], v[72:73], v[70:71]
	v_mul_f64 v[72:73], v[20:21], s[14:15]
	v_add_f64 v[70:71], v[70:71], v[110:111]
	s_delay_alu instid0(VALU_DEP_2) | instskip(SKIP_2) | instid1(VALU_DEP_3)
	v_add_f64 v[72:73], v[72:73], -v[78:79]
	v_mul_f64 v[78:79], v[22:23], s[2:3]
	v_mul_f64 v[22:23], v[22:23], s[8:9]
	v_add_f64 v[72:73], v[72:73], v[108:109]
	s_delay_alu instid0(VALU_DEP_3) | instskip(SKIP_2) | instid1(VALU_DEP_3)
	v_add_f64 v[78:79], v[80:81], v[78:79]
	v_mul_f64 v[80:81], v[20:21], s[2:3]
	v_mul_f64 v[20:21], v[20:21], s[8:9]
	v_add_f64 v[78:79], v[78:79], v[110:111]
	s_delay_alu instid0(VALU_DEP_3)
	v_add_f64 v[80:81], v[80:81], -v[88:89]
	scratch_load_b64 v[88:89], off, off offset:628 ; 8-byte Folded Reload
	v_add_f64 v[80:81], v[80:81], v[108:109]
	s_waitcnt vmcnt(0)
	v_add_f64 v[22:23], v[88:89], v[22:23]
	scratch_load_b64 v[88:89], off, off offset:612 ; 8-byte Folded Reload
	v_add_f64 v[22:23], v[22:23], v[110:111]
	s_waitcnt vmcnt(0)
	v_add_f64 v[20:21], v[20:21], -v[88:89]
	v_add_f64 v[88:89], v[18:19], v[110:111]
	v_mul_f64 v[18:19], v[90:91], s[22:23]
	s_delay_alu instid0(VALU_DEP_3) | instskip(SKIP_4) | instid1(VALU_DEP_1)
	v_add_f64 v[92:93], v[20:21], v[108:109]
	scratch_load_b64 v[20:21], off, off offset:1148 ; 8-byte Folded Reload
	s_waitcnt vmcnt(0)
	v_add_f64 v[18:19], v[20:21], v[18:19]
	v_mul_f64 v[20:21], v[60:61], s[8:9]
	v_add_f64 v[20:21], v[94:95], v[20:21]
	v_mul_f64 v[94:95], v[26:27], s[18:19]
	s_delay_alu instid0(VALU_DEP_1) | instskip(SKIP_1) | instid1(VALU_DEP_2)
	v_add_f64 v[94:95], v[96:97], v[94:95]
	v_mul_f64 v[96:97], v[84:85], s[22:23]
	v_add_f64 v[10:11], v[94:95], v[10:11]
	s_delay_alu instid0(VALU_DEP_2) | instskip(SKIP_2) | instid1(VALU_DEP_4)
	v_add_f64 v[96:97], v[96:97], -v[98:99]
	v_mul_f64 v[98:99], v[52:53], s[8:9]
	v_mul_f64 v[94:95], v[42:43], s[2:3]
	v_add_f64 v[10:11], v[20:21], v[10:11]
	v_mul_f64 v[20:21], v[76:77], s[24:25]
	s_delay_alu instid0(VALU_DEP_4)
	v_add_f64 v[98:99], v[98:99], -v[100:101]
	v_mul_f64 v[100:101], v[24:25], s[18:19]
	v_add_f64 v[94:95], v[94:95], -v[238:239]
	v_add_f64 v[10:11], v[18:19], v[10:11]
	v_mul_f64 v[18:19], v[74:75], s[24:25]
	v_add_f64 v[20:21], v[38:39], v[20:21]
	v_add_f64 v[100:101], v[100:101], -v[102:103]
	v_mul_f64 v[102:103], v[248:249], s[16:17]
	v_mul_f64 v[38:39], v[236:237], s[14:15]
	v_add_f64 v[18:19], v[18:19], -v[36:37]
	v_mul_f64 v[36:37], v[240:241], s[14:15]
	v_add_f64 v[12:13], v[12:13], v[100:101]
	v_add_f64 v[102:103], v[104:105], v[102:103]
	v_mul_f64 v[104:105], v[246:247], s[16:17]
	v_add_f64 v[6:7], v[38:39], -v[6:7]
	v_add_f64 v[36:37], v[62:63], v[36:37]
	v_add_f64 v[12:13], v[98:99], v[12:13]
	v_add_f64 v[10:11], v[102:103], v[10:11]
	v_add_f64 v[104:105], v[104:105], -v[106:107]
	v_mul_f64 v[106:107], v[44:45], s[2:3]
	s_clause 0x2
	scratch_load_b64 v[98:99], off, off offset:1204
	scratch_load_b64 v[38:39], off, off offset:1108
	;; [unrolled: 1-line block ×3, first 2 shown]
	v_add_f64 v[12:13], v[96:97], v[12:13]
	scratch_load_b64 v[96:97], off, off offset:1212 ; 8-byte Folded Reload
	v_add_f64 v[106:107], v[242:243], v[106:107]
	v_add_f64 v[12:13], v[104:105], v[12:13]
	s_delay_alu instid0(VALU_DEP_2) | instskip(NEXT) | instid1(VALU_DEP_2)
	v_add_f64 v[10:11], v[106:107], v[10:11]
	v_add_f64 v[12:13], v[94:95], v[12:13]
	scratch_load_b64 v[94:95], off, off offset:900 ; 8-byte Folded Reload
	v_add_f64 v[10:11], v[20:21], v[10:11]
	v_add_f64 v[12:13], v[18:19], v[12:13]
	s_delay_alu instid0(VALU_DEP_2)
	v_add_f64 v[20:21], v[36:37], v[10:11]
	s_clause 0x1
	scratch_load_b64 v[10:11], off, off offset:1116
	scratch_load_b64 v[36:37], off, off offset:908
	v_add_f64 v[18:19], v[6:7], v[12:13]
	scratch_load_b64 v[12:13], off, off offset:1020 ; 8-byte Folded Reload
	v_mul_f64 v[6:7], v[90:91], s[24:25]
	s_waitcnt vmcnt(2)
	s_delay_alu instid0(VALU_DEP_1) | instskip(SKIP_2) | instid1(VALU_DEP_1)
	v_add_f64 v[6:7], v[10:11], v[6:7]
	v_mul_f64 v[10:11], v[60:61], s[20:21]
	s_waitcnt vmcnt(0)
	v_add_f64 v[10:11], v[12:13], v[10:11]
	v_mul_f64 v[12:13], v[26:27], s[16:17]
	s_delay_alu instid0(VALU_DEP_1) | instskip(SKIP_1) | instid1(VALU_DEP_2)
	v_add_f64 v[12:13], v[36:37], v[12:13]
	v_mul_f64 v[36:37], v[84:85], s[24:25]
	v_add_f64 v[12:13], v[12:13], v[78:79]
	s_delay_alu instid0(VALU_DEP_2) | instskip(SKIP_2) | instid1(VALU_DEP_4)
	v_add_f64 v[36:37], v[36:37], -v[38:39]
	v_mul_f64 v[38:39], v[52:53], s[20:21]
	v_mul_f64 v[78:79], v[42:43], s[18:19]
	v_add_f64 v[10:11], v[10:11], v[12:13]
	s_delay_alu instid0(VALU_DEP_3) | instskip(SKIP_1) | instid1(VALU_DEP_4)
	v_add_f64 v[38:39], v[38:39], -v[62:63]
	v_mul_f64 v[62:63], v[24:25], s[16:17]
	v_add_f64 v[78:79], v[78:79], -v[228:229]
	s_delay_alu instid0(VALU_DEP_4) | instskip(NEXT) | instid1(VALU_DEP_3)
	v_add_f64 v[6:7], v[6:7], v[10:11]
	v_add_f64 v[62:63], v[62:63], -v[94:95]
	v_mul_f64 v[94:95], v[248:249], s[22:23]
	s_delay_alu instid0(VALU_DEP_2) | instskip(NEXT) | instid1(VALU_DEP_2)
	v_add_f64 v[62:63], v[80:81], v[62:63]
	v_add_f64 v[94:95], v[96:97], v[94:95]
	v_mul_f64 v[96:97], v[246:247], s[22:23]
	s_delay_alu instid0(VALU_DEP_3) | instskip(SKIP_1) | instid1(VALU_DEP_3)
	v_add_f64 v[12:13], v[38:39], v[62:63]
	v_mul_f64 v[38:39], v[76:77], s[14:15]
	v_add_f64 v[96:97], v[96:97], -v[98:99]
	v_mul_f64 v[98:99], v[44:45], s[18:19]
	v_add_f64 v[6:7], v[94:95], v[6:7]
	scratch_load_b64 v[62:63], off, off offset:1196 ; 8-byte Folded Reload
	v_add_f64 v[10:11], v[36:37], v[12:13]
	v_mul_f64 v[12:13], v[74:75], s[14:15]
	v_add_f64 v[30:31], v[30:31], v[38:39]
	v_add_f64 v[98:99], v[230:231], v[98:99]
	v_mul_f64 v[36:37], v[236:237], s[8:9]
	v_add_f64 v[10:11], v[96:97], v[10:11]
	v_add_f64 v[12:13], v[12:13], -v[28:29]
	v_mul_f64 v[28:29], v[240:241], s[8:9]
	v_add_f64 v[6:7], v[98:99], v[6:7]
	v_add_f64 v[36:37], v[36:37], -v[40:41]
	scratch_load_b64 v[40:41], off, off offset:996 ; 8-byte Folded Reload
	v_add_f64 v[10:11], v[78:79], v[10:11]
	scratch_load_b64 v[78:79], off, off offset:1188 ; 8-byte Folded Reload
	v_add_f64 v[28:29], v[46:47], v[28:29]
	v_add_f64 v[6:7], v[30:31], v[6:7]
	s_clause 0x1
	scratch_load_b64 v[38:39], off, off offset:1092
	scratch_load_b64 v[46:47], off, off offset:868
	v_add_f64 v[10:11], v[12:13], v[10:11]
	scratch_load_b64 v[12:13], off, off offset:1004 ; 8-byte Folded Reload
	v_add_f64 v[30:31], v[28:29], v[6:7]
	v_mul_f64 v[6:7], v[90:91], s[18:19]
	v_add_f64 v[28:29], v[36:37], v[10:11]
	s_clause 0x1
	scratch_load_b64 v[10:11], off, off offset:1100
	scratch_load_b64 v[36:37], off, off offset:884
	s_waitcnt vmcnt(1)
	v_add_f64 v[6:7], v[10:11], v[6:7]
	v_mul_f64 v[10:11], v[60:61], s[24:25]
	s_delay_alu instid0(VALU_DEP_1) | instskip(SKIP_2) | instid1(VALU_DEP_1)
	v_add_f64 v[10:11], v[12:13], v[10:11]
	v_mul_f64 v[12:13], v[26:27], s[20:21]
	s_waitcnt vmcnt(0)
	v_add_f64 v[12:13], v[36:37], v[12:13]
	v_mul_f64 v[36:37], v[84:85], s[18:19]
	s_delay_alu instid0(VALU_DEP_2) | instskip(NEXT) | instid1(VALU_DEP_2)
	v_add_f64 v[12:13], v[12:13], v[70:71]
	v_add_f64 v[36:37], v[36:37], -v[38:39]
	v_mul_f64 v[38:39], v[52:53], s[24:25]
	v_mul_f64 v[70:71], v[42:43], s[8:9]
	s_delay_alu instid0(VALU_DEP_4) | instskip(NEXT) | instid1(VALU_DEP_3)
	v_add_f64 v[10:11], v[10:11], v[12:13]
	v_add_f64 v[38:39], v[38:39], -v[40:41]
	v_mul_f64 v[40:41], v[24:25], s[20:21]
	s_delay_alu instid0(VALU_DEP_4) | instskip(NEXT) | instid1(VALU_DEP_4)
	v_add_f64 v[70:71], v[70:71], -v[224:225]
	v_add_f64 v[6:7], v[6:7], v[10:11]
	s_delay_alu instid0(VALU_DEP_3) | instskip(SKIP_1) | instid1(VALU_DEP_2)
	v_add_f64 v[40:41], v[40:41], -v[46:47]
	v_mul_f64 v[46:47], v[248:249], s[2:3]
	v_add_f64 v[40:41], v[72:73], v[40:41]
	s_delay_alu instid0(VALU_DEP_2) | instskip(SKIP_1) | instid1(VALU_DEP_3)
	v_add_f64 v[46:47], v[62:63], v[46:47]
	v_mul_f64 v[62:63], v[246:247], s[2:3]
	v_add_f64 v[12:13], v[38:39], v[40:41]
	v_mul_f64 v[38:39], v[76:77], s[16:17]
	s_delay_alu instid0(VALU_DEP_3)
	v_add_f64 v[62:63], v[62:63], -v[78:79]
	v_mul_f64 v[78:79], v[44:45], s[8:9]
	v_add_f64 v[6:7], v[46:47], v[6:7]
	s_clause 0x1
	scratch_load_b64 v[40:41], off, off offset:980
	scratch_load_b64 v[46:47], off, off offset:836
	v_add_f64 v[10:11], v[36:37], v[12:13]
	v_mul_f64 v[12:13], v[74:75], s[16:17]
	v_add_f64 v[2:3], v[2:3], v[38:39]
	v_add_f64 v[78:79], v[226:227], v[78:79]
	v_mul_f64 v[36:37], v[236:237], s[22:23]
	v_add_f64 v[10:11], v[62:63], v[10:11]
	v_add_f64 v[0:1], v[12:13], -v[0:1]
	v_mul_f64 v[12:13], v[240:241], s[22:23]
	v_add_f64 v[6:7], v[78:79], v[6:7]
	v_add_f64 v[36:37], v[36:37], -v[48:49]
	scratch_load_b64 v[48:49], off, off offset:1180 ; 8-byte Folded Reload
	v_mul_f64 v[62:63], v[42:43], s[22:23]
	v_add_f64 v[10:11], v[70:71], v[10:11]
	v_add_f64 v[12:13], v[50:51], v[12:13]
	scratch_load_b64 v[50:51], off, off offset:1172 ; 8-byte Folded Reload
	v_add_f64 v[2:3], v[2:3], v[6:7]
	scratch_load_b64 v[38:39], off, off offset:1076 ; 8-byte Folded Reload
	v_mul_f64 v[6:7], v[90:91], s[8:9]
	v_add_f64 v[62:63], v[62:63], -v[82:83]
	v_add_f64 v[0:1], v[0:1], v[10:11]
	scratch_load_b64 v[10:11], off, off offset:1084 ; 8-byte Folded Reload
	v_add_f64 v[2:3], v[12:13], v[2:3]
	scratch_load_b64 v[12:13], off, off offset:988 ; 8-byte Folded Reload
	;; [unrolled: 2-line block ×3, first 2 shown]
	s_waitcnt vmcnt(2)
	v_add_f64 v[6:7], v[10:11], v[6:7]
	v_mul_f64 v[10:11], v[60:61], s[18:19]
	s_waitcnt vmcnt(1)
	s_delay_alu instid0(VALU_DEP_1) | instskip(SKIP_2) | instid1(VALU_DEP_1)
	v_add_f64 v[10:11], v[12:13], v[10:11]
	v_mul_f64 v[12:13], v[26:27], s[24:25]
	s_waitcnt vmcnt(0)
	v_add_f64 v[12:13], v[36:37], v[12:13]
	v_mul_f64 v[36:37], v[84:85], s[8:9]
	s_delay_alu instid0(VALU_DEP_2) | instskip(NEXT) | instid1(VALU_DEP_2)
	v_add_f64 v[12:13], v[12:13], v[66:67]
	v_add_f64 v[36:37], v[36:37], -v[38:39]
	v_mul_f64 v[38:39], v[52:53], s[18:19]
	s_delay_alu instid0(VALU_DEP_3) | instskip(NEXT) | instid1(VALU_DEP_2)
	v_add_f64 v[10:11], v[10:11], v[12:13]
	v_add_f64 v[38:39], v[38:39], -v[40:41]
	v_mul_f64 v[40:41], v[24:25], s[24:25]
	s_delay_alu instid0(VALU_DEP_3) | instskip(NEXT) | instid1(VALU_DEP_2)
	v_add_f64 v[6:7], v[6:7], v[10:11]
	v_add_f64 v[40:41], v[40:41], -v[46:47]
	v_mul_f64 v[46:47], v[248:249], s[14:15]
	s_delay_alu instid0(VALU_DEP_2) | instskip(NEXT) | instid1(VALU_DEP_2)
	v_add_f64 v[40:41], v[68:69], v[40:41]
	v_add_f64 v[46:47], v[48:49], v[46:47]
	v_mul_f64 v[48:49], v[246:247], s[14:15]
	s_delay_alu instid0(VALU_DEP_3) | instskip(SKIP_1) | instid1(VALU_DEP_3)
	v_add_f64 v[12:13], v[38:39], v[40:41]
	v_mul_f64 v[38:39], v[76:77], s[20:21]
	v_add_f64 v[48:49], v[48:49], -v[50:51]
	v_mul_f64 v[50:51], v[44:45], s[22:23]
	v_add_f64 v[6:7], v[46:47], v[6:7]
	v_mul_f64 v[40:41], v[236:237], s[2:3]
	v_add_f64 v[10:11], v[36:37], v[12:13]
	;; [unrolled: 2-line block ×3, first 2 shown]
	v_add_f64 v[50:51], v[86:87], v[50:51]
	v_mul_f64 v[36:37], v[240:241], s[2:3]
	v_add_f64 v[40:41], v[40:41], -v[54:55]
	scratch_load_b64 v[54:55], off, off offset:1164 ; 8-byte Folded Reload
	v_add_f64 v[10:11], v[48:49], v[10:11]
	v_add_f64 v[12:13], v[12:13], -v[252:253]
	scratch_load_b64 v[48:49], off, off offset:964 ; 8-byte Folded Reload
	v_add_f64 v[6:7], v[50:51], v[6:7]
	v_add_f64 v[36:37], v[56:57], v[36:37]
	s_clause 0x2
	scratch_load_b64 v[56:57], off, off offset:1156
	scratch_load_b64 v[46:47], off, off offset:1060
	;; [unrolled: 1-line block ×3, first 2 shown]
	v_add_f64 v[10:11], v[62:63], v[10:11]
	v_add_f64 v[6:7], v[38:39], v[6:7]
	s_delay_alu instid0(VALU_DEP_2)
	v_add_f64 v[10:11], v[12:13], v[10:11]
	scratch_load_b64 v[12:13], off, off offset:972 ; 8-byte Folded Reload
	v_add_f64 v[38:39], v[36:37], v[6:7]
	v_mul_f64 v[6:7], v[90:91], s[14:15]
	v_add_f64 v[36:37], v[40:41], v[10:11]
	s_clause 0x1
	scratch_load_b64 v[10:11], off, off offset:1068
	scratch_load_b64 v[40:41], off, off offset:820
	s_waitcnt vmcnt(1)
	v_add_f64 v[6:7], v[10:11], v[6:7]
	v_mul_f64 v[10:11], v[60:61], s[2:3]
	s_delay_alu instid0(VALU_DEP_1) | instskip(SKIP_2) | instid1(VALU_DEP_1)
	v_add_f64 v[10:11], v[12:13], v[10:11]
	v_mul_f64 v[12:13], v[26:27], s[22:23]
	s_waitcnt vmcnt(0)
	v_add_f64 v[12:13], v[40:41], v[12:13]
	v_mul_f64 v[40:41], v[84:85], s[14:15]
	s_delay_alu instid0(VALU_DEP_2) | instskip(NEXT) | instid1(VALU_DEP_2)
	v_add_f64 v[12:13], v[12:13], v[88:89]
	v_add_f64 v[40:41], v[40:41], -v[46:47]
	v_mul_f64 v[46:47], v[52:53], s[2:3]
	s_delay_alu instid0(VALU_DEP_3) | instskip(NEXT) | instid1(VALU_DEP_2)
	v_add_f64 v[10:11], v[10:11], v[12:13]
	v_add_f64 v[46:47], v[46:47], -v[48:49]
	v_mul_f64 v[48:49], v[24:25], s[22:23]
	v_mul_f64 v[24:25], v[24:25], s[2:3]
	s_delay_alu instid0(VALU_DEP_4) | instskip(NEXT) | instid1(VALU_DEP_3)
	v_add_f64 v[6:7], v[6:7], v[10:11]
	v_add_f64 v[48:49], v[48:49], -v[50:51]
	v_mul_f64 v[50:51], v[248:249], s[24:25]
	s_delay_alu instid0(VALU_DEP_2) | instskip(NEXT) | instid1(VALU_DEP_2)
	v_add_f64 v[48:49], v[64:65], v[48:49]
	v_add_f64 v[50:51], v[54:55], v[50:51]
	v_mul_f64 v[54:55], v[246:247], s[24:25]
	s_delay_alu instid0(VALU_DEP_3) | instskip(SKIP_1) | instid1(VALU_DEP_3)
	v_add_f64 v[12:13], v[46:47], v[48:49]
	v_mul_f64 v[46:47], v[76:77], s[8:9]
	v_add_f64 v[54:55], v[54:55], -v[56:57]
	v_mul_f64 v[56:57], v[44:45], s[16:17]
	v_add_f64 v[6:7], v[50:51], v[6:7]
	v_mul_f64 v[44:45], v[44:45], s[20:21]
	s_clause 0x1
	scratch_load_b64 v[48:49], off, off offset:1132
	scratch_load_b64 v[50:51], off, off offset:1124
	v_add_f64 v[10:11], v[40:41], v[12:13]
	v_mul_f64 v[12:13], v[74:75], s[8:9]
	v_add_f64 v[46:47], v[250:251], v[46:47]
	v_add_f64 v[8:9], v[8:9], v[56:57]
	v_mul_f64 v[56:57], v[42:43], s[16:17]
	v_mul_f64 v[40:41], v[240:241], s[20:21]
	v_add_f64 v[10:11], v[54:55], v[10:11]
	v_add_f64 v[12:13], v[12:13], -v[244:245]
	v_add_f64 v[6:7], v[8:9], v[6:7]
	v_add_f64 v[56:57], v[56:57], -v[212:213]
	v_add_f64 v[4:5], v[4:5], v[40:41]
	scratch_load_b64 v[40:41], off, off offset:916 ; 8-byte Folded Reload
	v_add_f64 v[6:7], v[46:47], v[6:7]
	v_add_f64 v[8:9], v[56:57], v[10:11]
	v_mul_f64 v[10:11], v[236:237], s[20:21]
	scratch_load_b64 v[46:47], off, off offset:1028 ; 8-byte Folded Reload
	v_add_f64 v[6:7], v[4:5], v[6:7]
	v_add_f64 v[8:9], v[12:13], v[8:9]
	v_add_f64 v[10:11], v[10:11], -v[58:59]
	scratch_load_b64 v[12:13], off, off offset:940 ; 8-byte Folded Reload
	v_add_f64 v[4:5], v[10:11], v[8:9]
	scratch_load_b64 v[10:11], off, off offset:1036 ; 8-byte Folded Reload
	v_mul_f64 v[8:9], v[90:91], s[16:17]
	s_waitcnt vmcnt(0)
	s_delay_alu instid0(VALU_DEP_1) | instskip(SKIP_1) | instid1(VALU_DEP_1)
	v_add_f64 v[8:9], v[10:11], v[8:9]
	v_mul_f64 v[10:11], v[60:61], s[14:15]
	v_add_f64 v[10:11], v[12:13], v[10:11]
	v_mul_f64 v[12:13], v[26:27], s[2:3]
	scratch_load_b64 v[26:27], off, off offset:596 ; 8-byte Folded Reload
	s_waitcnt vmcnt(0)
	v_add_f64 v[12:13], v[26:27], v[12:13]
	scratch_load_b64 v[26:27], off, off offset:580 ; 8-byte Folded Reload
	v_add_f64 v[12:13], v[12:13], v[22:23]
	s_delay_alu instid0(VALU_DEP_1) | instskip(NEXT) | instid1(VALU_DEP_1)
	v_add_f64 v[10:11], v[10:11], v[12:13]
	v_add_f64 v[8:9], v[8:9], v[10:11]
	s_waitcnt vmcnt(0)
	v_add_f64 v[24:25], v[24:25], -v[26:27]
	v_mul_f64 v[26:27], v[52:53], s[14:15]
	s_delay_alu instid0(VALU_DEP_2) | instskip(NEXT) | instid1(VALU_DEP_2)
	v_add_f64 v[22:23], v[92:93], v[24:25]
	v_add_f64 v[26:27], v[26:27], -v[40:41]
	v_mul_f64 v[40:41], v[84:85], s[16:17]
	v_mul_f64 v[24:25], v[42:43], s[20:21]
	scratch_load_b64 v[42:43], off, off offset:1220 ; 8-byte Folded Reload
	v_add_f64 v[12:13], v[26:27], v[22:23]
	v_add_f64 v[40:41], v[40:41], -v[46:47]
	v_mul_f64 v[46:47], v[248:249], s[18:19]
	v_mul_f64 v[22:23], v[76:77], s[22:23]
	;; [unrolled: 1-line block ×3, first 2 shown]
	s_delay_alu instid0(VALU_DEP_4) | instskip(NEXT) | instid1(VALU_DEP_4)
	v_add_f64 v[10:11], v[40:41], v[12:13]
	v_add_f64 v[46:47], v[48:49], v[46:47]
	v_mul_f64 v[48:49], v[246:247], s[18:19]
	v_mul_f64 v[12:13], v[74:75], s[22:23]
	v_add_f64 v[22:23], v[234:235], v[22:23]
	v_add_f64 v[26:27], v[34:35], v[26:27]
	;; [unrolled: 1-line block ×3, first 2 shown]
	v_add_f64 v[48:49], v[48:49], -v[50:51]
	scratch_load_b64 v[50:51], off, off offset:1228 ; 8-byte Folded Reload
	v_add_f64 v[12:13], v[12:13], -v[232:233]
	v_add_f64 v[10:11], v[48:49], v[10:11]
	s_waitcnt vmcnt(1)
	v_add_f64 v[24:25], v[24:25], -v[42:43]
	s_delay_alu instid0(VALU_DEP_1) | instskip(SKIP_1) | instid1(VALU_DEP_2)
	v_add_f64 v[10:11], v[24:25], v[10:11]
	v_mul_f64 v[24:25], v[236:237], s[24:25]
	v_add_f64 v[12:13], v[12:13], v[10:11]
	s_delay_alu instid0(VALU_DEP_2) | instskip(SKIP_2) | instid1(VALU_DEP_1)
	v_add_f64 v[24:25], v[24:25], -v[32:33]
	s_waitcnt vmcnt(0)
	v_add_f64 v[44:45], v[50:51], v[44:45]
	v_add_f64 v[8:9], v[44:45], v[8:9]
	s_delay_alu instid0(VALU_DEP_1) | instskip(NEXT) | instid1(VALU_DEP_1)
	v_add_f64 v[8:9], v[22:23], v[8:9]
	v_add_f64 v[10:11], v[26:27], v[8:9]
	v_add_f64 v[8:9], v[24:25], v[12:13]
	v_lshl_add_u32 v12, v218, 4, v166
	ds_store_b128 v12, v[28:31] offset:32
	ds_store_b128 v12, v[0:3] offset:48
	;; [unrolled: 1-line block ×3, first 2 shown]
	scratch_load_b128 v[0:3], off, off offset:100 ; 16-byte Folded Reload
	s_waitcnt vmcnt(0)
	ds_store_b128 v12, v[0:3] offset:128
	scratch_load_b128 v[0:3], off, off offset:116 ; 16-byte Folded Reload
	s_waitcnt vmcnt(0)
	ds_store_b128 v12, v[0:3] offset:144
	;; [unrolled: 3-line block ×7, first 2 shown]
	ds_store_b128 v12, v[219:222] offset:240
	scratch_load_b128 v[0:3], off, off offset:68 ; 16-byte Folded Reload
	s_waitcnt vmcnt(0)
	ds_store_b128 v12, v[0:3] offset:112
	ds_store_b128 v12, v[4:7] offset:80
	;; [unrolled: 1-line block ×4, first 2 shown]
	ds_store_b128 v12, v[14:17]
	ds_store_b128 v12, v[214:217] offset:256
.LBB0_7:
	s_or_b32 exec_lo, exec_lo, s26
	scratch_load_b32 v108, off, off         ; 4-byte Folded Reload
	s_waitcnt vmcnt(0) lgkmcnt(0)
	s_waitcnt_vscnt null, 0x0
	s_barrier
	buffer_gl0_inv
	s_mov_b32 s2, 0xe8584caa
	s_mov_b32 s3, 0x3febb67a
	;; [unrolled: 1-line block ×4, first 2 shown]
	v_lshlrev_b32_e32 v0, 5, v108
	s_clause 0x1
	global_load_b128 v[223:226], v0, s[0:1]
	global_load_b128 v[109:112], v0, s[0:1] offset:16
	v_add_nc_u16 v0, v108, 34
	s_delay_alu instid0(VALU_DEP_1) | instskip(NEXT) | instid1(VALU_DEP_1)
	v_and_b32_e32 v1, 0xff, v0
	v_mul_lo_u16 v1, 0xf1, v1
	s_delay_alu instid0(VALU_DEP_1) | instskip(NEXT) | instid1(VALU_DEP_1)
	v_lshrrev_b16 v1, 12, v1
	v_mul_lo_u16 v1, v1, 17
	s_delay_alu instid0(VALU_DEP_1) | instskip(NEXT) | instid1(VALU_DEP_1)
	v_sub_nc_u16 v66, v0, v1
	v_lshlrev_b16 v0, 1, v66
	s_delay_alu instid0(VALU_DEP_1) | instskip(NEXT) | instid1(VALU_DEP_1)
	v_and_b32_e32 v0, 0xfe, v0
	v_lshlrev_b32_e32 v0, 4, v0
	s_clause 0x1
	global_load_b128 v[235:238], v0, s[0:1]
	global_load_b128 v[227:230], v0, s[0:1] offset:16
	v_add_nc_u16 v0, v108, 51
	s_delay_alu instid0(VALU_DEP_1) | instskip(NEXT) | instid1(VALU_DEP_1)
	v_and_b32_e32 v1, 0xff, v0
	v_mul_lo_u16 v1, 0xf1, v1
	s_delay_alu instid0(VALU_DEP_1) | instskip(NEXT) | instid1(VALU_DEP_1)
	v_lshrrev_b16 v1, 12, v1
	v_mul_lo_u16 v1, v1, 17
	s_delay_alu instid0(VALU_DEP_1) | instskip(NEXT) | instid1(VALU_DEP_1)
	v_sub_nc_u16 v67, v0, v1
	v_lshlrev_b16 v0, 1, v67
	s_delay_alu instid0(VALU_DEP_1) | instskip(NEXT) | instid1(VALU_DEP_1)
	v_and_b32_e32 v0, 0xfe, v0
	v_lshlrev_b32_e32 v30, 4, v0
	global_load_b128 v[231:234], v30, s[0:1]
	ds_load_b128 v[0:3], v164 offset:2176
	ds_load_b128 v[4:7], v164 offset:4352
	global_load_b128 v[243:246], v30, s[0:1] offset:16
	ds_load_b128 v[8:11], v164 offset:2448
	ds_load_b128 v[12:15], v164 offset:4624
	s_waitcnt vmcnt(5) lgkmcnt(3)
	v_mul_f64 v[16:17], v[2:3], v[225:226]
	v_mul_f64 v[18:19], v[0:1], v[225:226]
	s_waitcnt vmcnt(4) lgkmcnt(2)
	v_mul_f64 v[20:21], v[6:7], v[111:112]
	v_mul_f64 v[22:23], v[4:5], v[111:112]
	s_waitcnt lgkmcnt(0)
	v_mul_f64 v[28:29], v[14:15], v[111:112]
	v_fma_f64 v[56:57], v[0:1], v[223:224], -v[16:17]
	v_fma_f64 v[60:61], v[2:3], v[223:224], v[18:19]
	ds_load_b128 v[0:3], v164 offset:2720
	v_mul_f64 v[26:27], v[8:9], v[225:226]
	v_mul_f64 v[16:17], v[12:13], v[111:112]
	v_fma_f64 v[58:59], v[4:5], v[109:110], -v[20:21]
	v_mul_f64 v[24:25], v[10:11], v[225:226]
	v_fma_f64 v[62:63], v[6:7], v[109:110], v[22:23]
	s_waitcnt vmcnt(3) lgkmcnt(0)
	v_mul_f64 v[20:21], v[2:3], v[237:238]
	v_mul_f64 v[22:23], v[0:1], v[237:238]
	v_fma_f64 v[6:7], v[10:11], v[223:224], v[26:27]
	v_fma_f64 v[10:11], v[14:15], v[109:110], v[16:17]
	ds_load_b128 v[16:19], v164 offset:4896
	v_fma_f64 v[4:5], v[8:9], v[223:224], -v[24:25]
	v_fma_f64 v[8:9], v[12:13], v[109:110], -v[28:29]
	v_add_f64 v[73:74], v[60:61], v[62:63]
	v_add_f64 v[64:65], v[56:57], v[58:59]
	v_fma_f64 v[14:15], v[0:1], v[235:236], -v[20:21]
	v_fma_f64 v[24:25], v[2:3], v[235:236], v[22:23]
	s_waitcnt vmcnt(2) lgkmcnt(0)
	v_mul_f64 v[0:1], v[16:17], v[229:230]
	v_mul_f64 v[12:13], v[18:19], v[229:230]
	v_add_f64 v[77:78], v[6:7], v[10:11]
	s_delay_alu instid0(VALU_DEP_3) | instskip(SKIP_4) | instid1(VALU_DEP_1)
	v_fma_f64 v[28:29], v[18:19], v[227:228], v[0:1]
	ds_load_b128 v[0:3], v164 offset:2992
	v_fma_f64 v[22:23], v[16:17], v[227:228], -v[12:13]
	s_waitcnt vmcnt(1) lgkmcnt(0)
	v_mul_f64 v[12:13], v[2:3], v[233:234]
	v_fma_f64 v[12:13], v[0:1], v[231:232], -v[12:13]
	v_mul_f64 v[0:1], v[0:1], v[233:234]
	s_delay_alu instid0(VALU_DEP_1) | instskip(SKIP_3) | instid1(VALU_DEP_1)
	v_fma_f64 v[16:17], v[2:3], v[231:232], v[0:1]
	ds_load_b128 v[0:3], v164 offset:5168
	s_waitcnt vmcnt(0) lgkmcnt(0)
	v_mul_f64 v[18:19], v[2:3], v[245:246]
	v_fma_f64 v[18:19], v[0:1], v[243:244], -v[18:19]
	v_mul_f64 v[0:1], v[0:1], v[245:246]
	s_delay_alu instid0(VALU_DEP_1) | instskip(SKIP_1) | instid1(VALU_DEP_1)
	v_fma_f64 v[26:27], v[2:3], v[243:244], v[0:1]
	v_add_nc_u16 v0, v108, 0x44
	v_and_b32_e32 v1, 0xff, v0
	s_delay_alu instid0(VALU_DEP_1) | instskip(NEXT) | instid1(VALU_DEP_1)
	v_mul_lo_u16 v1, 0xf1, v1
	v_lshrrev_b16 v1, 12, v1
	s_delay_alu instid0(VALU_DEP_1) | instskip(NEXT) | instid1(VALU_DEP_1)
	v_mul_lo_u16 v1, v1, 17
	v_sub_nc_u16 v68, v0, v1
	s_delay_alu instid0(VALU_DEP_1) | instskip(NEXT) | instid1(VALU_DEP_1)
	v_lshlrev_b16 v0, 1, v68
	v_and_b32_e32 v0, 0xfe, v0
	s_delay_alu instid0(VALU_DEP_1)
	v_lshlrev_b32_e32 v32, 4, v0
	ds_load_b128 v[0:3], v164 offset:3264
	global_load_b128 v[33:36], v32, s[0:1]
	s_waitcnt vmcnt(0) lgkmcnt(0)
	v_mul_f64 v[20:21], v[2:3], v[35:36]
	scratch_store_b128 off, v[33:36], off offset:500 ; 16-byte Folded Spill
	v_fma_f64 v[20:21], v[0:1], v[33:34], -v[20:21]
	v_mul_f64 v[0:1], v[0:1], v[35:36]
	s_delay_alu instid0(VALU_DEP_1)
	v_fma_f64 v[30:31], v[2:3], v[33:34], v[0:1]
	global_load_b128 v[34:37], v32, s[0:1] offset:16
	ds_load_b128 v[0:3], v164 offset:5440
	s_waitcnt vmcnt(0) lgkmcnt(0)
	v_mul_f64 v[32:33], v[2:3], v[36:37]
	scratch_store_b128 off, v[34:37], off offset:468 ; 16-byte Folded Spill
	v_fma_f64 v[32:33], v[0:1], v[34:35], -v[32:33]
	v_mul_f64 v[0:1], v[0:1], v[36:37]
	s_delay_alu instid0(VALU_DEP_1) | instskip(SKIP_1) | instid1(VALU_DEP_1)
	v_fma_f64 v[36:37], v[2:3], v[34:35], v[0:1]
	v_add_nc_u16 v0, v108, 0x55
	v_and_b32_e32 v1, 0xff, v0
	s_delay_alu instid0(VALU_DEP_1) | instskip(NEXT) | instid1(VALU_DEP_1)
	v_mul_lo_u16 v1, 0xf1, v1
	v_lshrrev_b16 v1, 12, v1
	s_delay_alu instid0(VALU_DEP_1) | instskip(NEXT) | instid1(VALU_DEP_1)
	v_mul_lo_u16 v1, v1, 17
	v_sub_nc_u16 v69, v0, v1
	s_delay_alu instid0(VALU_DEP_1) | instskip(NEXT) | instid1(VALU_DEP_1)
	v_lshlrev_b16 v0, 1, v69
	v_and_b32_e32 v0, 0xfe, v0
	s_delay_alu instid0(VALU_DEP_1)
	v_lshlrev_b32_e32 v40, 4, v0
	ds_load_b128 v[0:3], v164 offset:3536
	global_load_b128 v[41:44], v40, s[0:1]
	s_waitcnt vmcnt(0) lgkmcnt(0)
	v_mul_f64 v[34:35], v[2:3], v[43:44]
	scratch_store_b128 off, v[41:44], off offset:516 ; 16-byte Folded Spill
	v_fma_f64 v[34:35], v[0:1], v[41:42], -v[34:35]
	v_mul_f64 v[0:1], v[0:1], v[43:44]
	s_delay_alu instid0(VALU_DEP_1)
	v_fma_f64 v[38:39], v[2:3], v[41:42], v[0:1]
	global_load_b128 v[42:45], v40, s[0:1] offset:16
	ds_load_b128 v[0:3], v164 offset:5712
	s_waitcnt vmcnt(0) lgkmcnt(0)
	v_mul_f64 v[40:41], v[2:3], v[44:45]
	scratch_store_b128 off, v[42:45], off offset:484 ; 16-byte Folded Spill
	;; [unrolled: 31-line block ×3, first 2 shown]
	v_fma_f64 v[48:49], v[0:1], v[50:51], -v[48:49]
	v_mul_f64 v[0:1], v[0:1], v[52:53]
	s_delay_alu instid0(VALU_DEP_1) | instskip(SKIP_1) | instid1(VALU_DEP_1)
	v_fma_f64 v[52:53], v[2:3], v[50:51], v[0:1]
	v_add_nc_u16 v0, v108, 0x77
	v_and_b32_e32 v1, 0xff, v0
	s_delay_alu instid0(VALU_DEP_1) | instskip(NEXT) | instid1(VALU_DEP_1)
	v_mul_lo_u16 v1, 0xf1, v1
	v_lshrrev_b16 v1, 12, v1
	s_delay_alu instid0(VALU_DEP_1) | instskip(NEXT) | instid1(VALU_DEP_1)
	v_mul_lo_u16 v1, v1, 17
	v_sub_nc_u16 v71, v0, v1
	s_delay_alu instid0(VALU_DEP_1) | instskip(NEXT) | instid1(VALU_DEP_1)
	v_lshlrev_b16 v0, 1, v71
	v_and_b32_e32 v0, 0xfe, v0
	s_delay_alu instid0(VALU_DEP_1)
	v_lshlrev_b32_e32 v72, 4, v0
	ds_load_b128 v[0:3], v164 offset:4080
	s_clause 0x1
	global_load_b128 v[239:242], v72, s[0:1]
	global_load_b128 v[81:84], v72, s[0:1] offset:16
	s_waitcnt vmcnt(1) lgkmcnt(0)
	v_mul_f64 v[50:51], v[2:3], v[241:242]
	s_waitcnt vmcnt(0)
	scratch_store_b128 off, v[81:84], off offset:916 ; 16-byte Folded Spill
	v_fma_f64 v[50:51], v[0:1], v[239:240], -v[50:51]
	v_mul_f64 v[0:1], v[0:1], v[241:242]
	s_delay_alu instid0(VALU_DEP_1)
	v_fma_f64 v[54:55], v[2:3], v[239:240], v[0:1]
	ds_load_b128 v[0:3], v164
	s_waitcnt lgkmcnt(0)
	v_fma_f64 v[73:74], v[73:74], -0.5, v[2:3]
	v_add_f64 v[2:3], v[2:3], v[60:61]
	v_fma_f64 v[64:65], v[64:65], -0.5, v[0:1]
	v_add_f64 v[0:1], v[0:1], v[56:57]
	v_add_f64 v[60:61], v[60:61], -v[62:63]
	s_delay_alu instid0(VALU_DEP_4) | instskip(SKIP_1) | instid1(VALU_DEP_4)
	v_add_f64 v[2:3], v[2:3], v[62:63]
	v_add_f64 v[62:63], v[56:57], -v[58:59]
	v_add_f64 v[0:1], v[0:1], v[58:59]
	s_delay_alu instid0(VALU_DEP_4)
	v_fma_f64 v[56:57], v[60:61], s[2:3], v[64:65]
	v_fma_f64 v[60:61], v[60:61], s[8:9], v[64:65]
	v_add_f64 v[64:65], v[4:5], v[8:9]
	v_fma_f64 v[58:59], v[62:63], s[8:9], v[73:74]
	v_fma_f64 v[62:63], v[62:63], s[2:3], v[73:74]
	ds_load_b128 v[73:76], v164 offset:272
	s_waitcnt lgkmcnt(0)
	v_fma_f64 v[77:78], v[77:78], -0.5, v[75:76]
	v_add_f64 v[75:76], v[75:76], v[6:7]
	v_fma_f64 v[64:65], v[64:65], -0.5, v[73:74]
	v_add_f64 v[73:74], v[73:74], v[4:5]
	v_add_f64 v[6:7], v[6:7], -v[10:11]
	s_delay_alu instid0(VALU_DEP_4) | instskip(SKIP_1) | instid1(VALU_DEP_4)
	v_add_f64 v[75:76], v[75:76], v[10:11]
	v_add_f64 v[10:11], v[4:5], -v[8:9]
	v_add_f64 v[73:74], v[73:74], v[8:9]
	s_delay_alu instid0(VALU_DEP_4) | instskip(SKIP_1) | instid1(VALU_DEP_4)
	v_fma_f64 v[4:5], v[6:7], s[2:3], v[64:65]
	v_fma_f64 v[8:9], v[6:7], s[8:9], v[64:65]
	;; [unrolled: 1-line block ×4, first 2 shown]
	ds_load_b128 v[77:80], v164 offset:6256
	s_waitcnt lgkmcnt(0)
	v_mul_f64 v[64:65], v[79:80], v[83:84]
	s_delay_alu instid0(VALU_DEP_1) | instskip(SKIP_1) | instid1(VALU_DEP_1)
	v_fma_f64 v[64:65], v[77:78], v[81:82], -v[64:65]
	v_mul_f64 v[77:78], v[77:78], v[83:84]
	v_fma_f64 v[101:102], v[79:80], v[81:82], v[77:78]
	ds_load_b128 v[77:80], v164 offset:544
	ds_load_b128 v[81:84], v164 offset:816
	;; [unrolled: 1-line block ×6, first 2 shown]
	s_waitcnt lgkmcnt(0)
	s_waitcnt_vscnt null, 0x0
	s_barrier
	buffer_gl0_inv
	ds_store_b128 v164, v[0:3]
	ds_store_b128 v164, v[73:76] offset:816
	ds_store_b128 v164, v[56:59] offset:272
	;; [unrolled: 1-line block ×5, first 2 shown]
	v_add_f64 v[0:1], v[14:15], v[22:23]
	v_add_f64 v[8:9], v[24:25], -v[28:29]
	v_add_f64 v[56:57], v[16:17], -v[26:27]
	;; [unrolled: 1-line block ×3, first 2 shown]
	v_add_f64 v[4:5], v[77:78], v[14:15]
	v_add_f64 v[14:15], v[14:15], -v[22:23]
	v_fma_f64 v[6:7], v[0:1], -0.5, v[77:78]
	v_add_f64 v[0:1], v[24:25], v[28:29]
	v_add_f64 v[76:77], v[46:47], -v[52:53]
	s_delay_alu instid0(VALU_DEP_2) | instskip(SKIP_1) | instid1(VALU_DEP_1)
	v_fma_f64 v[10:11], v[0:1], -0.5, v[79:80]
	v_add_f64 v[0:1], v[79:80], v[24:25]
	v_add_f64 v[2:3], v[0:1], v[28:29]
	;; [unrolled: 1-line block ×3, first 2 shown]
	v_fma_f64 v[4:5], v[8:9], s[2:3], v[6:7]
	v_fma_f64 v[8:9], v[8:9], s[8:9], v[6:7]
	;; [unrolled: 1-line block ×4, first 2 shown]
	v_add_f64 v[14:15], v[12:13], v[18:19]
	v_add_f64 v[22:23], v[81:82], v[12:13]
	v_add_f64 v[12:13], v[12:13], -v[18:19]
	s_delay_alu instid0(VALU_DEP_3) | instskip(SKIP_2) | instid1(VALU_DEP_2)
	v_fma_f64 v[24:25], v[14:15], -0.5, v[81:82]
	v_add_f64 v[14:15], v[16:17], v[26:27]
	v_add_f64 v[80:81], v[54:55], -v[101:102]
	v_fma_f64 v[28:29], v[14:15], -0.5, v[83:84]
	v_add_f64 v[14:15], v[83:84], v[16:17]
	s_delay_alu instid0(VALU_DEP_1)
	v_add_f64 v[16:17], v[14:15], v[26:27]
	v_add_f64 v[14:15], v[22:23], v[18:19]
	v_fma_f64 v[22:23], v[56:57], s[2:3], v[24:25]
	v_fma_f64 v[26:27], v[56:57], s[8:9], v[24:25]
	;; [unrolled: 1-line block ×4, first 2 shown]
	v_add_f64 v[12:13], v[20:21], v[32:33]
	v_add_f64 v[18:19], v[30:31], v[36:37]
	;; [unrolled: 1-line block ×3, first 2 shown]
	s_delay_alu instid0(VALU_DEP_3) | instskip(NEXT) | instid1(VALU_DEP_3)
	v_fma_f64 v[12:13], v[12:13], -0.5, v[85:86]
	v_fma_f64 v[60:61], v[18:19], -0.5, v[87:88]
	v_add_f64 v[18:19], v[87:88], v[30:31]
	v_add_f64 v[30:31], v[30:31], -v[36:37]
	v_add_f64 v[56:57], v[56:57], v[32:33]
	v_add_f64 v[32:33], v[20:21], -v[32:33]
	s_delay_alu instid0(VALU_DEP_4) | instskip(NEXT) | instid1(VALU_DEP_4)
	v_add_f64 v[58:59], v[18:19], v[36:37]
	v_fma_f64 v[18:19], v[30:31], s[2:3], v[12:13]
	v_fma_f64 v[30:31], v[30:31], s[8:9], v[12:13]
	v_add_f64 v[12:13], v[34:35], v[40:41]
	v_add_f64 v[36:37], v[38:39], v[44:45]
	v_fma_f64 v[20:21], v[32:33], s[8:9], v[60:61]
	v_fma_f64 v[32:33], v[32:33], s[2:3], v[60:61]
	v_add_f64 v[60:61], v[89:90], v[34:35]
	v_add_f64 v[34:35], v[34:35], -v[40:41]
	v_fma_f64 v[12:13], v[12:13], -0.5, v[89:90]
	v_fma_f64 v[74:75], v[36:37], -0.5, v[91:92]
	v_add_f64 v[36:37], v[91:92], v[38:39]
	s_delay_alu instid0(VALU_DEP_3) | instskip(NEXT) | instid1(VALU_DEP_2)
	v_fma_f64 v[72:73], v[62:63], s[8:9], v[12:13]
	v_add_f64 v[38:39], v[36:37], v[44:45]
	v_add_f64 v[36:37], v[60:61], v[40:41]
	v_fma_f64 v[60:61], v[62:63], s[2:3], v[12:13]
	v_add_f64 v[12:13], v[42:43], v[48:49]
	v_fma_f64 v[62:63], v[34:35], s[8:9], v[74:75]
	v_fma_f64 v[74:75], v[34:35], s[2:3], v[74:75]
	v_add_f64 v[34:35], v[46:47], v[52:53]
	v_add_f64 v[44:45], v[93:94], v[42:43]
	;; [unrolled: 1-line block ×3, first 2 shown]
	v_fma_f64 v[12:13], v[12:13], -0.5, v[93:94]
	s_delay_alu instid0(VALU_DEP_4) | instskip(NEXT) | instid1(VALU_DEP_4)
	v_fma_f64 v[34:35], v[34:35], -0.5, v[95:96]
	v_add_f64 v[44:45], v[44:45], v[48:49]
	v_add_f64 v[48:49], v[42:43], -v[48:49]
	v_add_f64 v[46:47], v[40:41], v[52:53]
	v_add_f64 v[52:53], v[97:98], v[50:51]
	v_fma_f64 v[40:41], v[76:77], s[2:3], v[12:13]
	v_fma_f64 v[76:77], v[76:77], s[8:9], v[12:13]
	v_add_f64 v[12:13], v[50:51], v[64:65]
	v_fma_f64 v[42:43], v[48:49], s[8:9], v[34:35]
	v_fma_f64 v[78:79], v[48:49], s[2:3], v[34:35]
	v_add_f64 v[34:35], v[54:55], v[101:102]
	v_add_f64 v[48:49], v[99:100], v[54:55]
	;; [unrolled: 1-line block ×3, first 2 shown]
	v_add_f64 v[64:65], v[50:51], -v[64:65]
	v_fma_f64 v[12:13], v[12:13], -0.5, v[97:98]
	v_fma_f64 v[34:35], v[34:35], -0.5, v[99:100]
	v_add_f64 v[54:55], v[48:49], v[101:102]
	s_delay_alu instid0(VALU_DEP_3) | instskip(SKIP_4) | instid1(VALU_DEP_3)
	v_fma_f64 v[48:49], v[80:81], s[2:3], v[12:13]
	v_fma_f64 v[80:81], v[80:81], s[8:9], v[12:13]
	v_and_b32_e32 v12, 0xff, v66
	v_fma_f64 v[50:51], v[64:65], s[8:9], v[34:35]
	v_fma_f64 v[82:83], v[64:65], s[2:3], v[34:35]
	v_lshl_add_u32 v12, v12, 4, v166
	s_mov_b32 s3, 0x3fe6a09e
	ds_store_b128 v12, v[0:3] offset:1632
	v_and_b32_e32 v0, 0xff, v67
	s_delay_alu instid0(VALU_DEP_1) | instskip(SKIP_1) | instid1(VALU_DEP_1)
	v_lshl_add_u32 v1, v0, 4, v166
	v_and_b32_e32 v0, 0xff, v68
	v_lshl_add_u32 v115, v0, 4, v166
	v_and_b32_e32 v0, 0xff, v69
	s_delay_alu instid0(VALU_DEP_1)
	v_lshl_add_u32 v114, v0, 4, v166
	v_and_b32_e32 v0, 0xff, v70
	ds_store_b128 v1, v[14:17] offset:2448
	v_mad_u64_u32 v[16:17], null, 0x70, v108, s[0:1]
	ds_store_b128 v114, v[36:39] offset:4080
	v_lshl_add_u32 v247, v0, 4, v166
	v_and_b32_e32 v0, 0xff, v71
	ds_store_b128 v115, v[56:59] offset:3264
	ds_store_b128 v247, v[44:47] offset:4896
	v_lshl_add_u32 v113, v0, 4, v166
	ds_store_b128 v113, v[52:55] offset:5712
	ds_store_b128 v12, v[4:7] offset:1904
	scratch_store_b32 off, v12, off offset:908 ; 4-byte Folded Spill
	ds_store_b128 v12, v[8:11] offset:2176
	ds_store_b128 v1, v[22:25] offset:2720
	scratch_store_b32 off, v1, off offset:900 ; 4-byte Folded Spill
	ds_store_b128 v1, v[26:29] offset:2992
	ds_store_b128 v115, v[18:21] offset:3536
	;; [unrolled: 1-line block ×9, first 2 shown]
	s_waitcnt lgkmcnt(0)
	s_waitcnt_vscnt null, 0x0
	s_barrier
	buffer_gl0_inv
	s_clause 0x1
	global_load_b128 v[6:9], v[16:17], off offset:544
	global_load_b128 v[10:13], v[16:17], off offset:2464
	ds_load_b128 v[0:3], v164 offset:816
	v_add_co_u32 v72, s0, 0x770, v16
	s_delay_alu instid0(VALU_DEP_1)
	v_add_co_ci_u32_e64 v73, s0, 0, v17, s0
	s_mov_b32 s0, 0x667f3bcd
	s_mov_b32 s1, 0xbfe6a09e
	s_mov_b32 s2, s0
	s_clause 0x3
	global_load_b128 v[18:21], v[16:17], off offset:2480
	global_load_b128 v[74:77], v[72:73], off offset:2480
	global_load_b128 v[80:83], v[72:73], off offset:2512
	global_load_b128 v[84:87], v[72:73], off offset:2528
	s_waitcnt vmcnt(5) lgkmcnt(0)
	v_mul_f64 v[4:5], v[2:3], v[8:9]
	scratch_store_b128 off, v[6:9], off offset:564 ; 16-byte Folded Spill
	s_waitcnt vmcnt(4)
	scratch_store_b128 off, v[10:13], off offset:772 ; 16-byte Folded Spill
	s_waitcnt vmcnt(3)
	scratch_store_b128 off, v[18:21], off offset:820 ; 16-byte Folded Spill
	s_waitcnt vmcnt(2)
	scratch_store_b128 off, v[74:77], off offset:596 ; 16-byte Folded Spill
	s_waitcnt vmcnt(1)
	scratch_store_b128 off, v[80:83], off offset:804 ; 16-byte Folded Spill
	s_waitcnt vmcnt(0)
	scratch_store_b128 off, v[84:87], off offset:884 ; 16-byte Folded Spill
	v_fma_f64 v[44:45], v[0:1], v[6:7], -v[4:5]
	v_mul_f64 v[0:1], v[0:1], v[8:9]
	s_delay_alu instid0(VALU_DEP_1)
	v_fma_f64 v[46:47], v[2:3], v[6:7], v[0:1]
	global_load_b128 v[6:9], v[16:17], off offset:560
	ds_load_b128 v[0:3], v164 offset:1632
	s_waitcnt vmcnt(0) lgkmcnt(0)
	v_mul_f64 v[4:5], v[2:3], v[8:9]
	scratch_store_b128 off, v[6:9], off offset:868 ; 16-byte Folded Spill
	v_fma_f64 v[48:49], v[0:1], v[6:7], -v[4:5]
	v_mul_f64 v[0:1], v[0:1], v[8:9]
	s_delay_alu instid0(VALU_DEP_1)
	v_fma_f64 v[50:51], v[2:3], v[6:7], v[0:1]
	global_load_b128 v[6:9], v[16:17], off offset:576
	ds_load_b128 v[0:3], v164 offset:2448
	s_waitcnt vmcnt(0) lgkmcnt(0)
	v_mul_f64 v[4:5], v[2:3], v[8:9]
	;; [unrolled: 9-line block ×4, first 2 shown]
	scratch_store_b128 off, v[6:9], off offset:692 ; 16-byte Folded Spill
	v_fma_f64 v[32:33], v[0:1], v[6:7], -v[4:5]
	v_mul_f64 v[0:1], v[0:1], v[8:9]
	s_delay_alu instid0(VALU_DEP_2) | instskip(NEXT) | instid1(VALU_DEP_2)
	v_add_f64 v[96:97], v[44:45], -v[32:33]
	v_fma_f64 v[34:35], v[2:3], v[6:7], v[0:1]
	global_load_b128 v[6:9], v[16:17], off offset:624
	ds_load_b128 v[0:3], v164 offset:4896
	v_add_f64 v[98:99], v[46:47], -v[34:35]
	s_waitcnt vmcnt(0) lgkmcnt(0)
	v_mul_f64 v[4:5], v[2:3], v[8:9]
	scratch_store_b128 off, v[6:9], off offset:676 ; 16-byte Folded Spill
	v_fma_f64 v[36:37], v[0:1], v[6:7], -v[4:5]
	v_mul_f64 v[0:1], v[0:1], v[8:9]
	s_delay_alu instid0(VALU_DEP_2) | instskip(NEXT) | instid1(VALU_DEP_2)
	v_add_f64 v[92:93], v[48:49], -v[36:37]
	v_fma_f64 v[38:39], v[2:3], v[6:7], v[0:1]
	global_load_b128 v[6:9], v[16:17], off offset:640
	ds_load_b128 v[0:3], v164 offset:5712
	v_add_f64 v[94:95], v[50:51], -v[38:39]
	s_waitcnt vmcnt(0) lgkmcnt(0)
	v_mul_f64 v[4:5], v[2:3], v[8:9]
	scratch_store_b128 off, v[6:9], off offset:708 ; 16-byte Folded Spill
	v_fma_f64 v[40:41], v[0:1], v[6:7], -v[4:5]
	v_mul_f64 v[0:1], v[0:1], v[8:9]
	s_delay_alu instid0(VALU_DEP_2) | instskip(NEXT) | instid1(VALU_DEP_2)
	v_add_f64 v[102:103], v[52:53], -v[40:41]
	v_fma_f64 v[42:43], v[2:3], v[6:7], v[0:1]
	global_load_b128 v[6:9], v[16:17], off offset:2448
	ds_load_b128 v[2:5], v164 offset:1088
	v_add_f64 v[34:35], v[98:99], v[102:103]
	v_add_f64 v[100:101], v[54:55], -v[42:43]
	s_delay_alu instid0(VALU_DEP_1)
	v_add_f64 v[32:33], v[96:97], -v[100:101]
	s_waitcnt vmcnt(0) lgkmcnt(0)
	v_mul_f64 v[0:1], v[4:5], v[8:9]
	scratch_store_b128 off, v[6:9], off offset:756 ; 16-byte Folded Spill
	v_fma_f64 v[0:1], v[2:3], v[6:7], -v[0:1]
	v_mul_f64 v[2:3], v[2:3], v[8:9]
	s_delay_alu instid0(VALU_DEP_1) | instskip(SKIP_3) | instid1(VALU_DEP_1)
	v_fma_f64 v[2:3], v[4:5], v[6:7], v[2:3]
	ds_load_b128 v[6:9], v164 offset:1904
	s_waitcnt lgkmcnt(0)
	v_mul_f64 v[4:5], v[8:9], v[12:13]
	v_fma_f64 v[4:5], v[6:7], v[10:11], -v[4:5]
	v_mul_f64 v[6:7], v[6:7], v[12:13]
	s_delay_alu instid0(VALU_DEP_1) | instskip(SKIP_3) | instid1(VALU_DEP_1)
	v_fma_f64 v[6:7], v[8:9], v[10:11], v[6:7]
	ds_load_b128 v[10:13], v164 offset:2720
	s_waitcnt lgkmcnt(0)
	v_mul_f64 v[8:9], v[12:13], v[20:21]
	v_fma_f64 v[8:9], v[10:11], v[18:19], -v[8:9]
	v_mul_f64 v[10:11], v[10:11], v[20:21]
	global_load_b128 v[20:23], v[16:17], off offset:2496
	v_fma_f64 v[10:11], v[12:13], v[18:19], v[10:11]
	ds_load_b128 v[12:15], v164 offset:3536
	s_waitcnt vmcnt(0) lgkmcnt(0)
	v_mul_f64 v[18:19], v[14:15], v[22:23]
	scratch_store_b128 off, v[20:23], off offset:740 ; 16-byte Folded Spill
	v_fma_f64 v[56:57], v[12:13], v[20:21], -v[18:19]
	v_mul_f64 v[12:13], v[12:13], v[22:23]
	s_delay_alu instid0(VALU_DEP_1)
	v_fma_f64 v[58:59], v[14:15], v[20:21], v[12:13]
	global_load_b128 v[20:23], v[16:17], off offset:2512
	ds_load_b128 v[12:15], v164 offset:4352
	s_waitcnt vmcnt(0) lgkmcnt(0)
	v_mul_f64 v[18:19], v[14:15], v[22:23]
	scratch_store_b128 off, v[20:23], off offset:580 ; 16-byte Folded Spill
	v_fma_f64 v[60:61], v[12:13], v[20:21], -v[18:19]
	v_mul_f64 v[12:13], v[12:13], v[22:23]
	s_delay_alu instid0(VALU_DEP_2) | instskip(NEXT) | instid1(VALU_DEP_2)
	v_add_f64 v[60:61], v[0:1], -v[60:61]
	v_fma_f64 v[62:63], v[14:15], v[20:21], v[12:13]
	global_load_b128 v[20:23], v[16:17], off offset:2528
	ds_load_b128 v[12:15], v164 offset:5168
	v_fma_f64 v[0:1], v[0:1], 2.0, -v[60:61]
	v_add_f64 v[62:63], v[2:3], -v[62:63]
	s_delay_alu instid0(VALU_DEP_1)
	v_fma_f64 v[2:3], v[2:3], 2.0, -v[62:63]
	s_waitcnt vmcnt(0) lgkmcnt(0)
	v_mul_f64 v[18:19], v[14:15], v[22:23]
	scratch_store_b128 off, v[20:23], off offset:628 ; 16-byte Folded Spill
	v_fma_f64 v[64:65], v[12:13], v[20:21], -v[18:19]
	v_mul_f64 v[12:13], v[12:13], v[22:23]
	s_delay_alu instid0(VALU_DEP_2) | instskip(NEXT) | instid1(VALU_DEP_2)
	v_add_f64 v[64:65], v[4:5], -v[64:65]
	v_fma_f64 v[66:67], v[14:15], v[20:21], v[12:13]
	global_load_b128 v[20:23], v[16:17], off offset:2544
	ds_load_b128 v[12:15], v164 offset:5984
	v_fma_f64 v[4:5], v[4:5], 2.0, -v[64:65]
	v_add_f64 v[66:67], v[6:7], -v[66:67]
	s_delay_alu instid0(VALU_DEP_1)
	v_fma_f64 v[6:7], v[6:7], 2.0, -v[66:67]
	s_waitcnt vmcnt(0) lgkmcnt(0)
	v_mul_f64 v[18:19], v[14:15], v[22:23]
	scratch_store_b128 off, v[20:23], off offset:612 ; 16-byte Folded Spill
	v_fma_f64 v[68:69], v[12:13], v[20:21], -v[18:19]
	v_mul_f64 v[12:13], v[12:13], v[22:23]
	global_load_b128 v[22:25], v[72:73], off offset:2464
	v_add_f64 v[68:69], v[8:9], -v[68:69]
	v_fma_f64 v[70:71], v[14:15], v[20:21], v[12:13]
	global_load_b128 v[18:21], v[72:73], off offset:2448
	ds_load_b128 v[14:17], v164 offset:1360
	v_add_f64 v[42:43], v[62:63], v[68:69]
	v_add_f64 v[70:71], v[10:11], -v[70:71]
	v_fma_f64 v[8:9], v[8:9], 2.0, -v[68:69]
	s_delay_alu instid0(VALU_DEP_2) | instskip(SKIP_1) | instid1(VALU_DEP_3)
	v_add_f64 v[40:41], v[60:61], -v[70:71]
	v_fma_f64 v[10:11], v[10:11], 2.0, -v[70:71]
	v_add_f64 v[8:9], v[0:1], -v[8:9]
	s_delay_alu instid0(VALU_DEP_2) | instskip(NEXT) | instid1(VALU_DEP_2)
	v_add_f64 v[10:11], v[2:3], -v[10:11]
	v_fma_f64 v[0:1], v[0:1], 2.0, -v[8:9]
	s_delay_alu instid0(VALU_DEP_2)
	v_fma_f64 v[2:3], v[2:3], 2.0, -v[10:11]
	s_waitcnt vmcnt(1)
	scratch_store_b128 off, v[22:25], off offset:660 ; 16-byte Folded Spill
	s_waitcnt vmcnt(0) lgkmcnt(0)
	v_mul_f64 v[12:13], v[16:17], v[20:21]
	scratch_store_b128 off, v[18:21], off offset:644 ; 16-byte Folded Spill
	v_fma_f64 v[12:13], v[14:15], v[18:19], -v[12:13]
	v_mul_f64 v[14:15], v[14:15], v[20:21]
	s_delay_alu instid0(VALU_DEP_1) | instskip(SKIP_3) | instid1(VALU_DEP_1)
	v_fma_f64 v[14:15], v[16:17], v[18:19], v[14:15]
	ds_load_b128 v[18:21], v164 offset:2176
	s_waitcnt lgkmcnt(0)
	v_mul_f64 v[16:17], v[20:21], v[24:25]
	v_fma_f64 v[16:17], v[18:19], v[22:23], -v[16:17]
	v_mul_f64 v[18:19], v[18:19], v[24:25]
	s_delay_alu instid0(VALU_DEP_1) | instskip(SKIP_3) | instid1(VALU_DEP_1)
	v_fma_f64 v[18:19], v[20:21], v[22:23], v[18:19]
	ds_load_b128 v[22:25], v164 offset:2992
	s_waitcnt lgkmcnt(0)
	v_mul_f64 v[20:21], v[24:25], v[76:77]
	v_fma_f64 v[20:21], v[22:23], v[74:75], -v[20:21]
	v_mul_f64 v[22:23], v[22:23], v[76:77]
	global_load_b128 v[76:79], v[72:73], off offset:2496
	v_fma_f64 v[22:23], v[24:25], v[74:75], v[22:23]
	ds_load_b128 v[24:27], v164 offset:3808
	s_waitcnt vmcnt(0) lgkmcnt(0)
	v_mul_f64 v[74:75], v[26:27], v[78:79]
	scratch_store_b128 off, v[76:79], off offset:788 ; 16-byte Folded Spill
	v_fma_f64 v[74:75], v[24:25], v[76:77], -v[74:75]
	v_mul_f64 v[24:25], v[24:25], v[78:79]
	s_delay_alu instid0(VALU_DEP_1) | instskip(SKIP_3) | instid1(VALU_DEP_1)
	v_fma_f64 v[76:77], v[26:27], v[76:77], v[24:25]
	ds_load_b128 v[24:27], v164 offset:4624
	s_waitcnt lgkmcnt(0)
	v_mul_f64 v[78:79], v[26:27], v[82:83]
	v_fma_f64 v[78:79], v[24:25], v[80:81], -v[78:79]
	v_mul_f64 v[24:25], v[24:25], v[82:83]
	s_delay_alu instid0(VALU_DEP_2) | instskip(NEXT) | instid1(VALU_DEP_2)
	v_add_f64 v[78:79], v[12:13], -v[78:79]
	v_fma_f64 v[80:81], v[26:27], v[80:81], v[24:25]
	ds_load_b128 v[24:27], v164 offset:5440
	s_waitcnt lgkmcnt(0)
	v_mul_f64 v[82:83], v[26:27], v[86:87]
	v_fma_f64 v[12:13], v[12:13], 2.0, -v[78:79]
	v_add_f64 v[80:81], v[14:15], -v[80:81]
	s_delay_alu instid0(VALU_DEP_3)
	v_fma_f64 v[82:83], v[24:25], v[84:85], -v[82:83]
	v_mul_f64 v[24:25], v[24:25], v[86:87]
	global_load_b128 v[86:89], v[72:73], off offset:2544
	v_fma_f64 v[14:15], v[14:15], 2.0, -v[80:81]
	v_add_f64 v[82:83], v[16:17], -v[82:83]
	v_fma_f64 v[84:85], v[26:27], v[84:85], v[24:25]
	ds_load_b128 v[24:27], v164 offset:6256
	v_add_f64 v[84:85], v[18:19], -v[84:85]
	s_waitcnt vmcnt(0) lgkmcnt(0)
	v_mul_f64 v[72:73], v[26:27], v[88:89]
	scratch_store_b128 off, v[86:89], off offset:852 ; 16-byte Folded Spill
	v_fma_f64 v[72:73], v[24:25], v[86:87], -v[72:73]
	v_mul_f64 v[24:25], v[24:25], v[88:89]
	s_delay_alu instid0(VALU_DEP_2) | instskip(NEXT) | instid1(VALU_DEP_2)
	v_add_f64 v[72:73], v[20:21], -v[72:73]
	v_fma_f64 v[86:87], v[26:27], v[86:87], v[24:25]
	ds_load_b128 v[24:27], v164
	s_waitcnt lgkmcnt(0)
	v_add_f64 v[28:29], v[24:25], -v[28:29]
	v_add_f64 v[30:31], v[26:27], -v[30:31]
	;; [unrolled: 1-line block ×3, first 2 shown]
	s_delay_alu instid0(VALU_DEP_3) | instskip(NEXT) | instid1(VALU_DEP_3)
	v_add_f64 v[104:105], v[28:29], -v[94:95]
	v_add_f64 v[106:107], v[30:31], v[92:93]
	v_fma_f64 v[88:89], v[24:25], 2.0, -v[28:29]
	v_fma_f64 v[90:91], v[26:27], 2.0, -v[30:31]
	s_delay_alu instid0(VALU_DEP_4) | instskip(NEXT) | instid1(VALU_DEP_4)
	v_fma_f64 v[24:25], v[32:33], s[2:3], v[104:105]
	v_fma_f64 v[26:27], v[34:35], s[2:3], v[106:107]
	v_fma_f64 v[116:117], v[28:29], 2.0, -v[104:105]
	v_fma_f64 v[118:119], v[30:31], 2.0, -v[106:107]
	v_fma_f64 v[30:31], v[96:97], 2.0, -v[32:33]
	v_fma_f64 v[28:29], v[98:99], 2.0, -v[34:35]
	v_fma_f64 v[24:25], v[34:35], s[0:1], v[24:25]
	v_fma_f64 v[26:27], v[32:33], s[2:3], v[26:27]
	s_delay_alu instid0(VALU_DEP_4) | instskip(NEXT) | instid1(VALU_DEP_4)
	v_fma_f64 v[32:33], v[30:31], s[0:1], v[116:117]
	v_fma_f64 v[34:35], v[28:29], s[0:1], v[118:119]
	s_delay_alu instid0(VALU_DEP_2) | instskip(NEXT) | instid1(VALU_DEP_2)
	v_fma_f64 v[28:29], v[28:29], s[0:1], v[32:33]
	v_fma_f64 v[30:31], v[30:31], s[2:3], v[34:35]
	ds_load_b128 v[32:35], v164 offset:272
	s_waitcnt lgkmcnt(0)
	v_add_f64 v[36:37], v[32:33], -v[56:57]
	v_add_f64 v[38:39], v[34:35], -v[58:59]
	s_delay_alu instid0(VALU_DEP_2) | instskip(NEXT) | instid1(VALU_DEP_2)
	v_add_f64 v[120:121], v[36:37], -v[66:67]
	v_add_f64 v[122:123], v[38:39], v[64:65]
	v_fma_f64 v[56:57], v[32:33], 2.0, -v[36:37]
	v_fma_f64 v[58:59], v[34:35], 2.0, -v[38:39]
	s_delay_alu instid0(VALU_DEP_4) | instskip(NEXT) | instid1(VALU_DEP_4)
	v_fma_f64 v[32:33], v[40:41], s[2:3], v[120:121]
	v_fma_f64 v[34:35], v[42:43], s[2:3], v[122:123]
	v_fma_f64 v[124:125], v[36:37], 2.0, -v[120:121]
	v_fma_f64 v[126:127], v[38:39], 2.0, -v[122:123]
	;; [unrolled: 1-line block ×4, first 2 shown]
	v_fma_f64 v[32:33], v[42:43], s[0:1], v[32:33]
	v_fma_f64 v[34:35], v[40:41], s[2:3], v[34:35]
	s_delay_alu instid0(VALU_DEP_4) | instskip(NEXT) | instid1(VALU_DEP_4)
	v_fma_f64 v[40:41], v[38:39], s[0:1], v[124:125]
	v_fma_f64 v[42:43], v[36:37], s[0:1], v[126:127]
	s_delay_alu instid0(VALU_DEP_2) | instskip(NEXT) | instid1(VALU_DEP_2)
	v_fma_f64 v[36:37], v[36:37], s[0:1], v[40:41]
	v_fma_f64 v[38:39], v[38:39], s[2:3], v[42:43]
	ds_load_b128 v[40:43], v164 offset:544
	s_waitcnt lgkmcnt(0)
	v_add_f64 v[74:75], v[40:41], -v[74:75]
	v_add_f64 v[76:77], v[42:43], -v[76:77]
	s_delay_alu instid0(VALU_DEP_2) | instskip(NEXT) | instid1(VALU_DEP_2)
	v_fma_f64 v[128:129], v[40:41], 2.0, -v[74:75]
	v_fma_f64 v[130:131], v[42:43], 2.0, -v[76:77]
	v_add_f64 v[132:133], v[74:75], -v[84:85]
	v_add_f64 v[134:135], v[76:77], v[82:83]
	v_add_f64 v[40:41], v[78:79], -v[86:87]
	v_add_f64 v[42:43], v[80:81], v[72:73]
	s_delay_alu instid0(VALU_DEP_4) | instskip(NEXT) | instid1(VALU_DEP_4)
	v_fma_f64 v[74:75], v[74:75], 2.0, -v[132:133]
	v_fma_f64 v[76:77], v[76:77], 2.0, -v[134:135]
	s_delay_alu instid0(VALU_DEP_4) | instskip(NEXT) | instid1(VALU_DEP_4)
	v_fma_f64 v[136:137], v[40:41], s[2:3], v[132:133]
	v_fma_f64 v[138:139], v[42:43], s[2:3], v[134:135]
	s_delay_alu instid0(VALU_DEP_2) | instskip(NEXT) | instid1(VALU_DEP_2)
	v_fma_f64 v[252:253], v[42:43], s[0:1], v[136:137]
	v_fma_f64 v[254:255], v[40:41], s[2:3], v[138:139]
	v_fma_f64 v[40:41], v[78:79], 2.0, -v[40:41]
	v_fma_f64 v[42:43], v[80:81], 2.0, -v[42:43]
	s_delay_alu instid0(VALU_DEP_2) | instskip(NEXT) | instid1(VALU_DEP_2)
	v_fma_f64 v[136:137], v[40:41], s[0:1], v[74:75]
	v_fma_f64 v[138:139], v[42:43], s[0:1], v[76:77]
	s_delay_alu instid0(VALU_DEP_2) | instskip(NEXT) | instid1(VALU_DEP_2)
	v_fma_f64 v[248:249], v[42:43], s[0:1], v[136:137]
	v_fma_f64 v[250:251], v[40:41], s[2:3], v[138:139]
	v_fma_f64 v[40:41], v[48:49], 2.0, -v[92:93]
	v_fma_f64 v[42:43], v[50:51], 2.0, -v[94:95]
	;; [unrolled: 1-line block ×6, first 2 shown]
	s_add_u32 s2, s12, 0x1980
	s_addc_u32 s3, s13, 0
	v_add_f64 v[52:53], v[88:89], -v[40:41]
	v_add_f64 v[54:55], v[90:91], -v[42:43]
	s_delay_alu instid0(VALU_DEP_4) | instskip(NEXT) | instid1(VALU_DEP_4)
	v_add_f64 v[92:93], v[50:51], -v[44:45]
	v_add_f64 v[94:95], v[48:49], -v[46:47]
	s_delay_alu instid0(VALU_DEP_2) | instskip(NEXT) | instid1(VALU_DEP_2)
	v_add_f64 v[40:41], v[52:53], -v[92:93]
	v_add_f64 v[42:43], v[54:55], v[94:95]
	s_delay_alu instid0(VALU_DEP_2) | instskip(NEXT) | instid1(VALU_DEP_2)
	v_fma_f64 v[44:45], v[52:53], 2.0, -v[40:41]
	v_fma_f64 v[46:47], v[54:55], 2.0, -v[42:43]
	ds_store_b128 v164, v[40:43] offset:4896
	v_fma_f64 v[40:41], v[104:105], 2.0, -v[24:25]
	v_fma_f64 v[42:43], v[106:107], 2.0, -v[26:27]
	ds_store_b128 v164, v[24:27] offset:5712
	ds_store_b128 v164, v[44:47] offset:1632
	;; [unrolled: 1-line block ×3, first 2 shown]
	v_fma_f64 v[40:41], v[88:89], 2.0, -v[52:53]
	v_fma_f64 v[42:43], v[90:91], 2.0, -v[54:55]
	;; [unrolled: 1-line block ×4, first 2 shown]
	s_delay_alu instid0(VALU_DEP_2) | instskip(NEXT) | instid1(VALU_DEP_2)
	v_add_f64 v[24:25], v[40:41], -v[24:25]
	v_add_f64 v[26:27], v[42:43], -v[26:27]
	s_delay_alu instid0(VALU_DEP_2) | instskip(NEXT) | instid1(VALU_DEP_2)
	v_fma_f64 v[40:41], v[40:41], 2.0, -v[24:25]
	v_fma_f64 v[42:43], v[42:43], 2.0, -v[26:27]
	ds_store_b128 v164, v[24:27] offset:3264
	v_fma_f64 v[24:25], v[116:117], 2.0, -v[28:29]
	v_fma_f64 v[26:27], v[118:119], 2.0, -v[30:31]
	ds_store_b128 v164, v[28:31] offset:4080
	ds_store_b128 v164, v[40:43]
	v_add_f64 v[28:29], v[56:57], -v[4:5]
	v_add_f64 v[30:31], v[58:59], -v[6:7]
	s_delay_alu instid0(VALU_DEP_2) | instskip(NEXT) | instid1(VALU_DEP_2)
	v_fma_f64 v[4:5], v[56:57], 2.0, -v[28:29]
	v_fma_f64 v[6:7], v[58:59], 2.0, -v[30:31]
	s_delay_alu instid0(VALU_DEP_2) | instskip(NEXT) | instid1(VALU_DEP_2)
	v_add_f64 v[0:1], v[4:5], -v[0:1]
	v_add_f64 v[2:3], v[6:7], -v[2:3]
	s_delay_alu instid0(VALU_DEP_2) | instskip(NEXT) | instid1(VALU_DEP_2)
	v_fma_f64 v[4:5], v[4:5], 2.0, -v[0:1]
	v_fma_f64 v[6:7], v[6:7], 2.0, -v[2:3]
	ds_store_b128 v164, v[4:7] offset:272
	ds_store_b128 v164, v[24:27] offset:816
	v_fma_f64 v[4:5], v[16:17], 2.0, -v[82:83]
	v_fma_f64 v[6:7], v[18:19], 2.0, -v[84:85]
	;; [unrolled: 1-line block ×4, first 2 shown]
	v_lshlrev_b32_e32 v72, 4, v108
	v_add_f64 v[20:21], v[128:129], -v[4:5]
	v_add_f64 v[22:23], v[130:131], -v[6:7]
	;; [unrolled: 1-line block ×4, first 2 shown]
	scratch_load_b32 v18, off, off offset:932 ; 4-byte Folded Reload
	v_fma_f64 v[4:5], v[128:129], 2.0, -v[20:21]
	v_fma_f64 v[6:7], v[130:131], 2.0, -v[22:23]
	;; [unrolled: 1-line block ×4, first 2 shown]
	v_add_f64 v[16:17], v[20:21], -v[16:17]
	s_delay_alu instid0(VALU_DEP_3) | instskip(NEXT) | instid1(VALU_DEP_3)
	v_add_f64 v[12:13], v[4:5], -v[12:13]
	v_add_f64 v[14:15], v[6:7], -v[14:15]
	s_delay_alu instid0(VALU_DEP_2) | instskip(NEXT) | instid1(VALU_DEP_2)
	v_fma_f64 v[4:5], v[4:5], 2.0, -v[12:13]
	v_fma_f64 v[6:7], v[6:7], 2.0, -v[14:15]
	ds_store_b128 v164, v[4:7] offset:544
	v_fma_f64 v[4:5], v[124:125], 2.0, -v[36:37]
	v_fma_f64 v[6:7], v[126:127], 2.0, -v[38:39]
	s_waitcnt vmcnt(0)
	v_lshl_add_u32 v167, v18, 4, v167
	v_add_f64 v[18:19], v[22:23], v[24:25]
	ds_store_b128 v167, v[4:7] offset:1088
	v_add_f64 v[4:5], v[28:29], -v[10:11]
	v_add_f64 v[6:7], v[30:31], v[8:9]
	s_delay_alu instid0(VALU_DEP_2) | instskip(NEXT) | instid1(VALU_DEP_2)
	v_fma_f64 v[8:9], v[28:29], 2.0, -v[4:5]
	v_fma_f64 v[10:11], v[30:31], 2.0, -v[6:7]
	ds_store_b128 v167, v[8:11] offset:1904
	v_fma_f64 v[8:9], v[120:121], 2.0, -v[32:33]
	v_fma_f64 v[10:11], v[122:123], 2.0, -v[34:35]
	ds_store_b128 v167, v[8:11] offset:2720
	ds_store_b128 v167, v[0:3] offset:3536
	;; [unrolled: 1-line block ×5, first 2 shown]
	v_fma_f64 v[4:5], v[74:75], 2.0, -v[248:249]
	v_fma_f64 v[6:7], v[76:77], 2.0, -v[250:251]
	;; [unrolled: 1-line block ×6, first 2 shown]
	ds_store_b128 v167, v[4:7] offset:1360
	ds_store_b128 v167, v[0:3] offset:2176
	;; [unrolled: 1-line block ×7, first 2 shown]
	s_waitcnt lgkmcnt(0)
	s_waitcnt_vscnt null, 0x0
	s_barrier
	buffer_gl0_inv
	global_load_b128 v[20:23], v72, s[2:3]
	ds_load_b128 v[24:27], v164
	ds_load_b128 v[36:39], v164 offset:768
	ds_load_b128 v[44:47], v164 offset:1536
	;; [unrolled: 1-line block ×15, first 2 shown]
	s_waitcnt vmcnt(0) lgkmcnt(15)
	v_mul_f64 v[28:29], v[26:27], v[22:23]
	v_mul_f64 v[30:31], v[24:25], v[22:23]
	s_delay_alu instid0(VALU_DEP_2) | instskip(NEXT) | instid1(VALU_DEP_2)
	v_fma_f64 v[22:23], v[24:25], v[20:21], -v[28:29]
	v_fma_f64 v[24:25], v[26:27], v[20:21], v[30:31]
	global_load_b128 v[26:29], v72, s[2:3] offset:384
	ds_load_b128 v[30:33], v164 offset:384
	s_waitcnt vmcnt(0) lgkmcnt(0)
	v_mul_f64 v[20:21], v[32:33], v[28:29]
	v_mul_f64 v[34:35], v[30:31], v[28:29]
	s_delay_alu instid0(VALU_DEP_2) | instskip(NEXT) | instid1(VALU_DEP_2)
	v_fma_f64 v[28:29], v[30:31], v[26:27], -v[20:21]
	v_fma_f64 v[30:31], v[32:33], v[26:27], v[34:35]
	global_load_b128 v[32:35], v72, s[2:3] offset:768
	s_waitcnt vmcnt(0)
	v_mul_f64 v[20:21], v[38:39], v[34:35]
	v_mul_f64 v[26:27], v[36:37], v[34:35]
	s_delay_alu instid0(VALU_DEP_2) | instskip(NEXT) | instid1(VALU_DEP_2)
	v_fma_f64 v[36:37], v[36:37], v[32:33], -v[20:21]
	v_fma_f64 v[38:39], v[38:39], v[32:33], v[26:27]
	global_load_b128 v[32:35], v72, s[2:3] offset:1152
	s_waitcnt vmcnt(0)
	;; [unrolled: 7-line block ×9, first 2 shown]
	v_mul_f64 v[20:21], v[70:71], v[34:35]
	v_mul_f64 v[26:27], v[68:69], v[34:35]
	v_add_co_u32 v34, s0, s2, v72
	s_delay_alu instid0(VALU_DEP_1) | instskip(NEXT) | instid1(VALU_DEP_4)
	v_add_co_ci_u32_e64 v35, null, s3, 0, s0
	v_fma_f64 v[68:69], v[68:69], v[32:33], -v[20:21]
	s_delay_alu instid0(VALU_DEP_4) | instskip(NEXT) | instid1(VALU_DEP_4)
	v_fma_f64 v[70:71], v[70:71], v[32:33], v[26:27]
	v_add_co_u32 v32, s0, 0x1000, v34
	s_delay_alu instid0(VALU_DEP_1) | instskip(SKIP_4) | instid1(VALU_DEP_2)
	v_add_co_ci_u32_e64 v33, s0, 0, v35, s0
	global_load_b128 v[72:75], v[32:33], off offset:128
	s_waitcnt vmcnt(0)
	v_mul_f64 v[20:21], v[78:79], v[74:75]
	v_mul_f64 v[26:27], v[76:77], v[74:75]
	v_fma_f64 v[74:75], v[76:77], v[72:73], -v[20:21]
	scratch_load_b32 v20, off, off offset:452 ; 4-byte Folded Reload
	v_fma_f64 v[76:77], v[78:79], v[72:73], v[26:27]
	s_waitcnt vmcnt(0)
	global_load_b128 v[78:81], v20, s[2:3]
	s_waitcnt vmcnt(0)
	v_mul_f64 v[20:21], v[84:85], v[80:81]
	v_mul_f64 v[26:27], v[82:83], v[80:81]
	s_delay_alu instid0(VALU_DEP_2) | instskip(NEXT) | instid1(VALU_DEP_2)
	v_fma_f64 v[80:81], v[82:83], v[78:79], -v[20:21]
	v_fma_f64 v[82:83], v[84:85], v[78:79], v[26:27]
	global_load_b128 v[84:87], v[32:33], off offset:896
	s_waitcnt vmcnt(0)
	v_mul_f64 v[20:21], v[90:91], v[86:87]
	v_mul_f64 v[26:27], v[88:89], v[86:87]
	s_delay_alu instid0(VALU_DEP_2) | instskip(NEXT) | instid1(VALU_DEP_2)
	v_fma_f64 v[86:87], v[88:89], v[84:85], -v[20:21]
	v_fma_f64 v[88:89], v[90:91], v[84:85], v[26:27]
	global_load_b128 v[90:93], v[32:33], off offset:1280
	;; [unrolled: 7-line block ×3, first 2 shown]
	s_waitcnt vmcnt(0)
	v_mul_f64 v[20:21], v[102:103], v[98:99]
	v_mul_f64 v[26:27], v[100:101], v[98:99]
	s_delay_alu instid0(VALU_DEP_2)
	v_fma_f64 v[98:99], v[100:101], v[96:97], -v[20:21]
	scratch_load_b32 v20, off, off offset:444 ; 4-byte Folded Reload
	v_fma_f64 v[100:101], v[102:103], v[96:97], v[26:27]
	s_waitcnt vmcnt(0)
	global_load_b128 v[102:105], v20, s[2:3]
	s_waitcnt vmcnt(0)
	v_mul_f64 v[20:21], v[118:119], v[104:105]
	v_mul_f64 v[26:27], v[116:117], v[104:105]
	s_delay_alu instid0(VALU_DEP_2) | instskip(NEXT) | instid1(VALU_DEP_2)
	v_fma_f64 v[104:105], v[116:117], v[102:103], -v[20:21]
	v_fma_f64 v[106:107], v[118:119], v[102:103], v[26:27]
	ds_store_b128 v164, v[22:25]
	ds_store_b128 v164, v[28:31] offset:384
	ds_store_b128 v164, v[36:39] offset:768
	;; [unrolled: 1-line block ×16, first 2 shown]
	s_and_saveexec_b32 s0, vcc_lo
	s_cbranch_execz .LBB0_9
; %bb.8:
	s_clause 0x7
	global_load_b128 v[20:23], v[34:35], off offset:272
	global_load_b128 v[24:27], v[34:35], off offset:656
	;; [unrolled: 1-line block ×8, first 2 shown]
	ds_load_b128 v[56:59], v164 offset:272
	ds_load_b128 v[60:63], v164 offset:656
	global_load_b128 v[64:67], v[34:35], off offset:3344
	ds_load_b128 v[68:71], v164 offset:1040
	ds_load_b128 v[80:83], v164 offset:4880
	ds_load_b128 v[84:87], v164 offset:5264
	ds_load_b128 v[88:91], v164 offset:5648
	ds_load_b128 v[92:95], v164 offset:6032
	ds_load_b128 v[96:99], v164 offset:6416
	s_waitcnt vmcnt(8) lgkmcnt(7)
	v_mul_f64 v[72:73], v[58:59], v[22:23]
	v_mul_f64 v[22:23], v[56:57], v[22:23]
	s_waitcnt vmcnt(7) lgkmcnt(6)
	v_mul_f64 v[74:75], v[62:63], v[26:27]
	s_delay_alu instid0(VALU_DEP_3) | instskip(NEXT) | instid1(VALU_DEP_3)
	v_fma_f64 v[56:57], v[56:57], v[20:21], -v[72:73]
	v_fma_f64 v[58:59], v[58:59], v[20:21], v[22:23]
	v_mul_f64 v[22:23], v[60:61], v[26:27]
	s_delay_alu instid0(VALU_DEP_4)
	v_fma_f64 v[20:21], v[60:61], v[24:25], -v[74:75]
	ds_load_b128 v[72:75], v164 offset:1808
	v_fma_f64 v[22:23], v[62:63], v[24:25], v[22:23]
	ds_load_b128 v[24:27], v164 offset:1424
	s_waitcnt vmcnt(6) lgkmcnt(7)
	v_mul_f64 v[76:77], v[70:71], v[30:31]
	v_mul_f64 v[30:31], v[68:69], v[30:31]
	global_load_b128 v[60:63], v[34:35], off offset:3728
	v_fma_f64 v[68:69], v[68:69], v[28:29], -v[76:77]
	v_fma_f64 v[70:71], v[70:71], v[28:29], v[30:31]
	s_waitcnt vmcnt(6) lgkmcnt(0)
	v_mul_f64 v[28:29], v[26:27], v[38:39]
	v_mul_f64 v[30:31], v[24:25], v[38:39]
	s_delay_alu instid0(VALU_DEP_2) | instskip(NEXT) | instid1(VALU_DEP_2)
	v_fma_f64 v[24:25], v[24:25], v[36:37], -v[28:29]
	v_fma_f64 v[26:27], v[26:27], v[36:37], v[30:31]
	ds_load_b128 v[34:37], v164 offset:2192
	s_waitcnt vmcnt(5)
	v_mul_f64 v[38:39], v[74:75], v[42:43]
	v_mul_f64 v[42:43], v[72:73], v[42:43]
	global_load_b128 v[28:31], v[32:33], off offset:16
	v_fma_f64 v[38:39], v[72:73], v[40:41], -v[38:39]
	v_fma_f64 v[40:41], v[74:75], v[40:41], v[42:43]
	global_load_b128 v[72:75], v[32:33], off offset:400
	s_waitcnt vmcnt(6) lgkmcnt(0)
	v_mul_f64 v[42:43], v[36:37], v[46:47]
	v_mul_f64 v[46:47], v[34:35], v[46:47]
	s_delay_alu instid0(VALU_DEP_2) | instskip(NEXT) | instid1(VALU_DEP_2)
	v_fma_f64 v[34:35], v[34:35], v[44:45], -v[42:43]
	v_fma_f64 v[36:37], v[36:37], v[44:45], v[46:47]
	ds_load_b128 v[42:45], v164 offset:2576
	s_waitcnt vmcnt(5) lgkmcnt(0)
	v_mul_f64 v[46:47], v[44:45], v[50:51]
	v_mul_f64 v[50:51], v[42:43], v[50:51]
	s_delay_alu instid0(VALU_DEP_2) | instskip(NEXT) | instid1(VALU_DEP_2)
	v_fma_f64 v[42:43], v[42:43], v[48:49], -v[46:47]
	v_fma_f64 v[44:45], v[44:45], v[48:49], v[50:51]
	ds_load_b128 v[46:49], v164 offset:2960
	s_waitcnt vmcnt(4) lgkmcnt(0)
	v_mul_f64 v[50:51], v[48:49], v[54:55]
	v_mul_f64 v[54:55], v[46:47], v[54:55]
	s_delay_alu instid0(VALU_DEP_2) | instskip(NEXT) | instid1(VALU_DEP_2)
	v_fma_f64 v[46:47], v[46:47], v[52:53], -v[50:51]
	v_fma_f64 v[48:49], v[48:49], v[52:53], v[54:55]
	ds_load_b128 v[50:53], v164 offset:3344
	s_waitcnt vmcnt(3) lgkmcnt(0)
	v_mul_f64 v[54:55], v[52:53], v[66:67]
	v_mul_f64 v[66:67], v[50:51], v[66:67]
	s_delay_alu instid0(VALU_DEP_2) | instskip(NEXT) | instid1(VALU_DEP_2)
	v_fma_f64 v[50:51], v[50:51], v[64:65], -v[54:55]
	v_fma_f64 v[52:53], v[52:53], v[64:65], v[66:67]
	ds_load_b128 v[64:67], v164 offset:3728
	s_waitcnt vmcnt(2) lgkmcnt(0)
	v_mul_f64 v[54:55], v[66:67], v[62:63]
	v_mul_f64 v[76:77], v[64:65], v[62:63]
	s_delay_alu instid0(VALU_DEP_2) | instskip(NEXT) | instid1(VALU_DEP_2)
	v_fma_f64 v[62:63], v[64:65], v[60:61], -v[54:55]
	v_fma_f64 v[64:65], v[66:67], v[60:61], v[76:77]
	ds_load_b128 v[76:79], v164 offset:4112
	s_waitcnt vmcnt(1) lgkmcnt(0)
	v_mul_f64 v[54:55], v[78:79], v[30:31]
	v_mul_f64 v[30:31], v[76:77], v[30:31]
	s_delay_alu instid0(VALU_DEP_2) | instskip(NEXT) | instid1(VALU_DEP_2)
	v_fma_f64 v[76:77], v[76:77], v[28:29], -v[54:55]
	v_fma_f64 v[78:79], v[78:79], v[28:29], v[30:31]
	ds_load_b128 v[28:31], v164 offset:4496
	s_waitcnt vmcnt(0) lgkmcnt(0)
	v_mul_f64 v[54:55], v[30:31], v[74:75]
	v_mul_f64 v[60:61], v[28:29], v[74:75]
	s_delay_alu instid0(VALU_DEP_2) | instskip(NEXT) | instid1(VALU_DEP_2)
	v_fma_f64 v[28:29], v[28:29], v[72:73], -v[54:55]
	v_fma_f64 v[30:31], v[30:31], v[72:73], v[60:61]
	global_load_b128 v[72:75], v[32:33], off offset:784
	s_waitcnt vmcnt(0)
	v_mul_f64 v[54:55], v[82:83], v[74:75]
	v_mul_f64 v[60:61], v[80:81], v[74:75]
	s_delay_alu instid0(VALU_DEP_2) | instskip(NEXT) | instid1(VALU_DEP_2)
	v_fma_f64 v[80:81], v[80:81], v[72:73], -v[54:55]
	v_fma_f64 v[82:83], v[82:83], v[72:73], v[60:61]
	global_load_b128 v[72:75], v[32:33], off offset:1168
	s_waitcnt vmcnt(0)
	;; [unrolled: 7-line block ×5, first 2 shown]
	v_mul_f64 v[32:33], v[98:99], v[74:75]
	v_mul_f64 v[54:55], v[96:97], v[74:75]
	s_delay_alu instid0(VALU_DEP_2) | instskip(NEXT) | instid1(VALU_DEP_2)
	v_fma_f64 v[96:97], v[96:97], v[72:73], -v[32:33]
	v_fma_f64 v[98:99], v[98:99], v[72:73], v[54:55]
	ds_store_b128 v164, v[56:59] offset:272
	ds_store_b128 v164, v[20:23] offset:656
	;; [unrolled: 1-line block ×17, first 2 shown]
.LBB0_9:
	s_or_b32 exec_lo, exec_lo, s0
	s_waitcnt lgkmcnt(0)
	s_barrier
	buffer_gl0_inv
	ds_load_b128 v[20:23], v164
	ds_load_b128 v[24:27], v164 offset:384
	ds_load_b128 v[28:31], v164 offset:768
	;; [unrolled: 1-line block ×16, first 2 shown]
	s_and_saveexec_b32 s0, vcc_lo
	s_cbranch_execz .LBB0_11
; %bb.10:
	v_lshl_add_u32 v4, v108, 4, v166
	ds_load_b128 v[0:3], v4 offset:656
	ds_load_b128 v[8:11], v4 offset:1040
	;; [unrolled: 1-line block ×7, first 2 shown]
	s_waitcnt lgkmcnt(0)
	scratch_store_b128 off, v[88:91], off offset:68 ; 16-byte Folded Spill
	ds_load_b128 v[88:91], v4 offset:3344
	s_waitcnt lgkmcnt(0)
	scratch_store_b128 off, v[88:91], off offset:100 ; 16-byte Folded Spill
	ds_load_b128 v[88:91], v4 offset:3728
	;; [unrolled: 3-line block ×8, first 2 shown]
	ds_load_b128 v[214:217], v4 offset:6416
	ds_load_b128 v[4:7], v164 offset:272
.LBB0_11:
	s_or_b32 exec_lo, exec_lo, s0
	s_waitcnt lgkmcnt(15)
	v_add_f64 v[88:89], v[20:21], v[24:25]
	v_add_f64 v[90:91], v[22:23], v[26:27]
	s_waitcnt lgkmcnt(7)
	v_add_f64 v[94:95], v[86:87], v[82:83]
	s_waitcnt lgkmcnt(4)
	v_add_f64 v[106:107], v[54:55], v[62:63]
	v_add_f64 v[124:125], v[54:55], -v[62:63]
	s_waitcnt lgkmcnt(3)
	v_add_f64 v[132:133], v[46:47], v[58:59]
	v_add_f64 v[134:135], v[46:47], -v[58:59]
	s_waitcnt lgkmcnt(2)
	v_add_f64 v[136:137], v[38:39], v[50:51]
	v_add_f64 v[138:139], v[38:39], -v[50:51]
	s_mov_b32 s28, 0x7c9e640b
	s_mov_b32 s29, 0xbfeca52d
	s_waitcnt lgkmcnt(1)
	v_add_f64 v[140:141], v[30:31], v[42:43]
	v_add_f64 v[142:143], v[30:31], -v[42:43]
	s_mov_b32 s22, 0x5d8e7cdc
	s_mov_b32 s54, 0x2a9d6da3
	;; [unrolled: 1-line block ×25, first 2 shown]
	v_add_f64 v[88:89], v[88:89], v[28:29]
	v_add_f64 v[90:91], v[90:91], v[30:31]
	s_mov_b32 s21, 0x3fedd6d0
	s_mov_b32 s19, 0x3fe7a5f6
	s_mov_b32 s15, 0x3fb79ee6
	s_mov_b32 s9, 0xbfe348c8
	s_mov_b32 s1, 0xbfef7484
	s_mov_b32 s47, 0x3feec746
	s_mov_b32 s39, 0x3fe0d888
	s_mov_b32 s46, s52
	s_mov_b32 s38, s30
	s_mov_b32 s45, 0x3fd71e95
	s_mov_b32 s37, 0x3fe58eea
	s_mov_b32 s51, 0x3feca52d
	s_mov_b32 s35, 0x3fefdd0d
	s_mov_b32 s43, 0x3fe9895b
	s_mov_b32 s49, 0x3fc7851a
	s_mov_b32 s44, s22
	s_mov_b32 s36, s54
	s_mov_b32 s50, s28
	s_mov_b32 s34, s40
	s_mov_b32 s42, s24
	s_mov_b32 s48, s26
	s_waitcnt lgkmcnt(0)
	s_waitcnt_vscnt null, 0x0
	s_barrier
	buffer_gl0_inv
	v_add_f64 v[88:89], v[88:89], v[36:37]
	v_add_f64 v[90:91], v[90:91], v[38:39]
	s_delay_alu instid0(VALU_DEP_2) | instskip(NEXT) | instid1(VALU_DEP_2)
	v_add_f64 v[88:89], v[88:89], v[44:45]
	v_add_f64 v[90:91], v[90:91], v[46:47]
	s_delay_alu instid0(VALU_DEP_2) | instskip(NEXT) | instid1(VALU_DEP_2)
	v_add_f64 v[88:89], v[88:89], v[52:53]
	v_add_f64 v[90:91], v[90:91], v[54:55]
	v_add_f64 v[54:55], v[44:45], v[56:57]
	s_delay_alu instid0(VALU_DEP_3) | instskip(NEXT) | instid1(VALU_DEP_3)
	v_add_f64 v[88:89], v[88:89], v[64:65]
	v_add_f64 v[90:91], v[90:91], v[66:67]
	s_delay_alu instid0(VALU_DEP_2) | instskip(NEXT) | instid1(VALU_DEP_2)
	v_add_f64 v[88:89], v[88:89], v[72:73]
	v_add_f64 v[92:93], v[90:91], v[74:75]
	s_delay_alu instid0(VALU_DEP_2) | instskip(NEXT) | instid1(VALU_DEP_2)
	v_add_f64 v[90:91], v[88:89], v[84:85]
	v_add_f64 v[96:97], v[92:93], v[86:87]
	;; [unrolled: 1-line block ×3, first 2 shown]
	v_add_f64 v[84:85], v[84:85], -v[80:81]
	v_add_f64 v[86:87], v[86:87], -v[82:83]
	v_add_f64 v[88:89], v[90:91], v[80:81]
	v_add_f64 v[96:97], v[96:97], v[82:83]
	;; [unrolled: 1-line block ×3, first 2 shown]
	v_add_f64 v[72:73], v[72:73], -v[76:77]
	v_add_f64 v[82:83], v[74:75], v[78:79]
	v_add_f64 v[90:91], v[74:75], -v[78:79]
	v_add_f64 v[74:75], v[64:65], v[68:69]
	v_add_f64 v[64:65], v[64:65], -v[68:69]
	v_mul_f64 v[210:211], v[86:87], s[44:45]
	v_add_f64 v[76:77], v[88:89], v[76:77]
	v_add_f64 v[88:89], v[96:97], v[78:79]
	;; [unrolled: 1-line block ×3, first 2 shown]
	v_add_f64 v[96:97], v[66:67], -v[70:71]
	v_add_f64 v[66:67], v[52:53], v[60:61]
	v_add_f64 v[52:53], v[52:53], -v[60:61]
	v_mul_f64 v[206:207], v[90:91], s[50:51]
	v_mul_f64 v[208:209], v[82:83], s[16:17]
	v_add_f64 v[68:69], v[76:77], v[68:69]
	v_add_f64 v[70:71], v[88:89], v[70:71]
	v_mul_f64 v[204:205], v[78:79], s[12:13]
	s_delay_alu instid0(VALU_DEP_3) | instskip(NEXT) | instid1(VALU_DEP_3)
	v_add_f64 v[68:69], v[68:69], v[60:61]
	v_add_f64 v[62:63], v[70:71], v[62:63]
	v_add_f64 v[60:61], v[44:45], -v[56:57]
	s_delay_alu instid0(VALU_DEP_3) | instskip(NEXT) | instid1(VALU_DEP_3)
	v_add_f64 v[44:45], v[68:69], v[56:57]
	v_add_f64 v[46:47], v[62:63], v[58:59]
	;; [unrolled: 1-line block ×3, first 2 shown]
	v_add_f64 v[58:59], v[36:37], -v[48:49]
	v_add_f64 v[62:63], v[28:29], v[40:41]
	v_add_f64 v[68:69], v[28:29], -v[40:41]
	v_add_f64 v[36:37], v[44:45], v[48:49]
	v_add_f64 v[38:39], v[46:47], v[50:51]
	s_delay_alu instid0(VALU_DEP_2) | instskip(SKIP_1) | instid1(VALU_DEP_3)
	v_add_f64 v[28:29], v[36:37], v[40:41]
	v_add_f64 v[36:37], v[26:27], -v[34:35]
	v_add_f64 v[30:31], v[38:39], v[42:43]
	v_add_f64 v[38:39], v[24:25], v[32:33]
	;; [unrolled: 1-line block ×3, first 2 shown]
	v_add_f64 v[42:43], v[24:25], -v[32:33]
	v_add_f64 v[24:25], v[28:29], v[32:33]
	v_mul_f64 v[32:33], v[36:37], s[28:29]
	v_add_f64 v[26:27], v[30:31], v[34:35]
	v_mul_f64 v[28:29], v[36:37], s[22:23]
	v_mul_f64 v[30:31], v[36:37], s[54:55]
	;; [unrolled: 1-line block ×13, first 2 shown]
	v_fma_f64 v[98:99], v[38:39], s[16:17], v[32:33]
	v_fma_f64 v[32:33], v[38:39], s[16:17], -v[32:33]
	v_fma_f64 v[50:51], v[38:39], s[20:21], v[28:29]
	v_fma_f64 v[28:29], v[38:39], s[20:21], -v[28:29]
	;; [unrolled: 2-line block ×8, first 2 shown]
	v_mul_f64 v[38:39], v[40:41], s[20:21]
	v_mul_f64 v[40:41], v[40:41], s[0:1]
	v_fma_f64 v[150:151], v[42:43], s[28:29], v[76:77]
	v_fma_f64 v[154:155], v[42:43], s[46:47], v[122:123]
	;; [unrolled: 1-line block ×12, first 2 shown]
	v_add_f64 v[172:173], v[20:21], v[98:99]
	v_mul_f64 v[98:99], v[142:143], s[54:55]
	v_add_f64 v[176:177], v[20:21], v[32:33]
	v_add_f64 v[70:71], v[20:21], v[28:29]
	;; [unrolled: 1-line block ×11, first 2 shown]
	v_mul_f64 v[88:89], v[140:141], s[18:19]
	v_mul_f64 v[100:101], v[138:139], s[28:29]
	;; [unrolled: 1-line block ×3, first 2 shown]
	v_fma_f64 v[130:131], v[42:43], s[44:45], v[38:39]
	v_fma_f64 v[38:39], v[42:43], s[22:23], v[38:39]
	;; [unrolled: 1-line block ×4, first 2 shown]
	v_add_f64 v[42:43], v[20:21], v[50:51]
	v_add_f64 v[178:179], v[22:23], v[150:151]
	v_add_f64 v[190:191], v[22:23], v[154:155]
	v_add_f64 v[160:161], v[22:23], v[158:159]
	v_add_f64 v[158:159], v[20:21], v[48:49]
	v_add_f64 v[154:155], v[20:21], v[118:119]
	v_add_f64 v[150:151], v[20:21], v[36:37]
	v_add_f64 v[170:171], v[22:23], v[146:147]
	v_add_f64 v[174:175], v[22:23], v[148:149]
	v_add_f64 v[182:183], v[22:23], v[152:153]
	v_add_f64 v[186:187], v[22:23], v[120:121]
	v_add_f64 v[194:195], v[22:23], v[122:123]
	v_add_f64 v[198:199], v[22:23], v[156:157]
	v_add_f64 v[202:203], v[22:23], v[126:127]
	v_add_f64 v[156:157], v[22:23], v[128:129]
	v_mul_f64 v[104:105], v[134:135], s[40:41]
	v_mul_f64 v[116:117], v[132:133], s[14:15]
	;; [unrolled: 1-line block ×4, first 2 shown]
	v_fma_f64 v[20:21], v[62:63], s[18:19], v[98:99]
	v_mul_f64 v[122:123], v[96:97], s[24:25]
	v_mul_f64 v[126:127], v[78:79], s[8:9]
	;; [unrolled: 1-line block ×8, first 2 shown]
	v_fma_f64 v[32:33], v[56:57], s[16:17], v[100:101]
	v_add_f64 v[50:51], v[22:23], v[130:131]
	v_add_f64 v[76:77], v[22:23], v[38:39]
	;; [unrolled: 1-line block ×5, first 2 shown]
	v_fma_f64 v[22:23], v[68:69], s[36:37], v[88:89]
	v_mul_f64 v[130:131], v[82:83], s[2:3]
	v_mul_f64 v[144:145], v[86:87], s[26:27]
	;; [unrolled: 1-line block ×4, first 2 shown]
	v_add_f64 v[20:21], v[20:21], v[42:43]
	v_mul_f64 v[42:43], v[136:137], s[8:9]
	v_add_f64 v[22:23], v[22:23], v[50:51]
	v_mul_f64 v[50:51], v[106:107], s[2:3]
	s_delay_alu instid0(VALU_DEP_4) | instskip(SKIP_1) | instid1(VALU_DEP_1)
	v_add_f64 v[20:21], v[32:33], v[20:21]
	v_fma_f64 v[32:33], v[58:59], s[50:51], v[102:103]
	v_add_f64 v[22:23], v[32:33], v[22:23]
	v_fma_f64 v[32:33], v[54:55], s[14:15], v[104:105]
	s_delay_alu instid0(VALU_DEP_1) | instskip(SKIP_1) | instid1(VALU_DEP_1)
	v_add_f64 v[20:21], v[32:33], v[20:21]
	v_fma_f64 v[32:33], v[60:61], s[34:35], v[116:117]
	v_add_f64 v[22:23], v[32:33], v[22:23]
	v_fma_f64 v[32:33], v[66:67], s[12:13], v[118:119]
	s_delay_alu instid0(VALU_DEP_1) | instskip(SKIP_1) | instid1(VALU_DEP_1)
	;; [unrolled: 5-line block ×5, first 2 shown]
	v_add_f64 v[20:21], v[32:33], v[20:21]
	v_fma_f64 v[32:33], v[84:85], s[48:49], v[146:147]
	v_add_f64 v[22:23], v[32:33], v[22:23]
	v_fma_f64 v[32:33], v[62:63], s[14:15], v[36:37]
	v_fma_f64 v[36:37], v[62:63], s[14:15], -v[36:37]
	s_delay_alu instid0(VALU_DEP_2) | instskip(SKIP_1) | instid1(VALU_DEP_3)
	v_add_f64 v[28:29], v[32:33], v[28:29]
	v_fma_f64 v[32:33], v[68:69], s[34:35], v[40:41]
	v_add_f64 v[30:31], v[36:37], v[30:31]
	v_fma_f64 v[36:37], v[68:69], s[40:41], v[40:41]
	s_delay_alu instid0(VALU_DEP_3) | instskip(SKIP_1) | instid1(VALU_DEP_3)
	v_add_f64 v[32:33], v[32:33], v[38:39]
	v_mul_f64 v[38:39], v[138:139], s[24:25]
	v_add_f64 v[36:37], v[36:37], v[170:171]
	v_mul_f64 v[170:171], v[124:125], s[36:37]
	s_delay_alu instid0(VALU_DEP_3) | instskip(SKIP_1) | instid1(VALU_DEP_2)
	v_fma_f64 v[34:35], v[56:57], s[8:9], v[38:39]
	v_fma_f64 v[38:39], v[56:57], s[8:9], -v[38:39]
	v_add_f64 v[28:29], v[34:35], v[28:29]
	v_fma_f64 v[34:35], v[58:59], s[42:43], v[42:43]
	s_delay_alu instid0(VALU_DEP_3) | instskip(SKIP_1) | instid1(VALU_DEP_3)
	v_add_f64 v[30:31], v[38:39], v[30:31]
	v_fma_f64 v[38:39], v[58:59], s[24:25], v[42:43]
	v_add_f64 v[32:33], v[34:35], v[32:33]
	v_fma_f64 v[34:35], v[54:55], s[0:1], v[44:45]
	s_delay_alu instid0(VALU_DEP_3) | instskip(SKIP_2) | instid1(VALU_DEP_4)
	v_add_f64 v[36:37], v[38:39], v[36:37]
	v_fma_f64 v[38:39], v[54:55], s[0:1], -v[44:45]
	v_mul_f64 v[44:45], v[140:141], s[8:9]
	v_add_f64 v[28:29], v[34:35], v[28:29]
	v_fma_f64 v[34:35], v[60:61], s[48:49], v[46:47]
	s_delay_alu instid0(VALU_DEP_4) | instskip(SKIP_2) | instid1(VALU_DEP_4)
	v_add_f64 v[30:31], v[38:39], v[30:31]
	v_fma_f64 v[38:39], v[60:61], s[26:27], v[46:47]
	v_mul_f64 v[46:47], v[138:139], s[48:49]
	v_add_f64 v[32:33], v[34:35], v[32:33]
	v_fma_f64 v[34:35], v[66:67], s[2:3], v[48:49]
	s_delay_alu instid0(VALU_DEP_4)
	v_add_f64 v[36:37], v[38:39], v[36:37]
	v_fma_f64 v[38:39], v[66:67], s[2:3], -v[48:49]
	v_fma_f64 v[42:43], v[56:57], s[0:1], v[46:47]
	v_mul_f64 v[48:49], v[136:137], s[0:1]
	v_fma_f64 v[46:47], v[56:57], s[0:1], -v[46:47]
	v_add_f64 v[28:29], v[34:35], v[28:29]
	v_fma_f64 v[34:35], v[52:53], s[30:31], v[50:51]
	v_add_f64 v[30:31], v[38:39], v[30:31]
	v_fma_f64 v[38:39], v[52:53], s[38:39], v[50:51]
	v_mul_f64 v[50:51], v[134:135], s[46:47]
	s_delay_alu instid0(VALU_DEP_4) | instskip(SKIP_1) | instid1(VALU_DEP_4)
	v_add_f64 v[32:33], v[34:35], v[32:33]
	v_fma_f64 v[34:35], v[74:75], s[12:13], v[168:169]
	v_add_f64 v[36:37], v[38:39], v[36:37]
	v_fma_f64 v[38:39], v[74:75], s[12:13], -v[168:169]
	v_mul_f64 v[168:169], v[132:133], s[12:13]
	s_delay_alu instid0(VALU_DEP_4) | instskip(SKIP_1) | instid1(VALU_DEP_4)
	v_add_f64 v[28:29], v[34:35], v[28:29]
	v_fma_f64 v[34:35], v[64:65], s[52:53], v[204:205]
	v_add_f64 v[30:31], v[38:39], v[30:31]
	v_fma_f64 v[38:39], v[64:65], s[46:47], v[204:205]
	v_mul_f64 v[204:205], v[78:79], s[20:21]
	s_delay_alu instid0(VALU_DEP_4) | instskip(SKIP_1) | instid1(VALU_DEP_4)
	v_add_f64 v[32:33], v[34:35], v[32:33]
	v_fma_f64 v[34:35], v[80:81], s[16:17], v[206:207]
	v_add_f64 v[36:37], v[38:39], v[36:37]
	v_fma_f64 v[38:39], v[80:81], s[16:17], -v[206:207]
	v_mul_f64 v[206:207], v[90:91], s[40:41]
	s_delay_alu instid0(VALU_DEP_4) | instskip(SKIP_1) | instid1(VALU_DEP_4)
	v_add_f64 v[28:29], v[34:35], v[28:29]
	v_fma_f64 v[34:35], v[72:73], s[28:29], v[208:209]
	v_add_f64 v[30:31], v[38:39], v[30:31]
	v_fma_f64 v[38:39], v[72:73], s[50:51], v[208:209]
	v_mul_f64 v[208:209], v[82:83], s[14:15]
	s_delay_alu instid0(VALU_DEP_4) | instskip(SKIP_1) | instid1(VALU_DEP_4)
	v_add_f64 v[34:35], v[34:35], v[32:33]
	v_fma_f64 v[32:33], v[92:93], s[20:21], v[210:211]
	v_add_f64 v[36:37], v[38:39], v[36:37]
	v_fma_f64 v[38:39], v[92:93], s[20:21], -v[210:211]
	v_mul_f64 v[210:211], v[86:87], s[30:31]
	s_delay_alu instid0(VALU_DEP_4) | instskip(SKIP_1) | instid1(VALU_DEP_1)
	v_add_f64 v[32:33], v[32:33], v[28:29]
	v_mul_f64 v[28:29], v[94:95], s[20:21]
	v_fma_f64 v[40:41], v[84:85], s[44:45], v[28:29]
	v_fma_f64 v[212:213], v[84:85], s[22:23], v[28:29]
	v_add_f64 v[28:29], v[38:39], v[30:31]
	s_delay_alu instid0(VALU_DEP_3)
	v_add_f64 v[30:31], v[40:41], v[36:37]
	v_mul_f64 v[36:37], v[142:143], s[24:25]
	v_fma_f64 v[40:41], v[68:69], s[42:43], v[44:45]
	v_fma_f64 v[44:45], v[68:69], s[24:25], v[44:45]
	v_add_f64 v[34:35], v[212:213], v[34:35]
	ds_store_b128 v165, v[24:27]
	ds_store_b128 v165, v[20:23] offset:16
	ds_store_b128 v165, v[32:35] offset:32
	v_fma_f64 v[38:39], v[62:63], s[8:9], v[36:37]
	v_add_f64 v[40:41], v[40:41], v[174:175]
	v_fma_f64 v[36:37], v[62:63], s[8:9], -v[36:37]
	v_add_f64 v[44:45], v[44:45], v[178:179]
	v_mul_f64 v[174:175], v[96:97], s[22:23]
	v_mul_f64 v[178:179], v[124:125], s[28:29]
	v_add_f64 v[38:39], v[38:39], v[172:173]
	v_mul_f64 v[172:173], v[106:107], s[18:19]
	v_add_f64 v[36:37], v[36:37], v[176:177]
	v_mul_f64 v[176:177], v[132:133], s[20:21]
	s_delay_alu instid0(VALU_DEP_4) | instskip(SKIP_1) | instid1(VALU_DEP_4)
	v_add_f64 v[38:39], v[42:43], v[38:39]
	v_fma_f64 v[42:43], v[58:59], s[26:27], v[48:49]
	v_add_f64 v[36:37], v[46:47], v[36:37]
	v_fma_f64 v[46:47], v[58:59], s[48:49], v[48:49]
	s_delay_alu instid0(VALU_DEP_3) | instskip(SKIP_1) | instid1(VALU_DEP_3)
	v_add_f64 v[40:41], v[42:43], v[40:41]
	v_fma_f64 v[42:43], v[54:55], s[12:13], v[50:51]
	v_add_f64 v[44:45], v[46:47], v[44:45]
	v_fma_f64 v[46:47], v[54:55], s[12:13], -v[50:51]
	s_delay_alu instid0(VALU_DEP_3) | instskip(SKIP_1) | instid1(VALU_DEP_3)
	v_add_f64 v[38:39], v[42:43], v[38:39]
	v_fma_f64 v[42:43], v[60:61], s[52:53], v[168:169]
	v_add_f64 v[36:37], v[46:47], v[36:37]
	v_fma_f64 v[46:47], v[60:61], s[46:47], v[168:169]
	v_mul_f64 v[168:169], v[140:141], s[0:1]
	s_delay_alu instid0(VALU_DEP_4) | instskip(SKIP_1) | instid1(VALU_DEP_4)
	v_add_f64 v[40:41], v[42:43], v[40:41]
	v_fma_f64 v[42:43], v[66:67], s[18:19], v[170:171]
	v_add_f64 v[44:45], v[46:47], v[44:45]
	v_fma_f64 v[46:47], v[66:67], s[18:19], -v[170:171]
	v_mul_f64 v[170:171], v[138:139], s[46:47]
	v_fma_f64 v[48:49], v[68:69], s[48:49], v[168:169]
	v_fma_f64 v[168:169], v[68:69], s[26:27], v[168:169]
	v_add_f64 v[38:39], v[42:43], v[38:39]
	v_fma_f64 v[42:43], v[52:53], s[54:55], v[172:173]
	v_add_f64 v[36:37], v[46:47], v[36:37]
	v_fma_f64 v[46:47], v[52:53], s[36:37], v[172:173]
	v_fma_f64 v[50:51], v[56:57], s[12:13], v[170:171]
	v_mul_f64 v[172:173], v[136:137], s[12:13]
	v_add_f64 v[48:49], v[48:49], v[182:183]
	v_fma_f64 v[170:171], v[56:57], s[12:13], -v[170:171]
	v_add_f64 v[168:169], v[168:169], v[186:187]
	v_mul_f64 v[182:183], v[96:97], s[30:31]
	v_add_f64 v[40:41], v[42:43], v[40:41]
	v_fma_f64 v[42:43], v[74:75], s[20:21], v[174:175]
	v_add_f64 v[44:45], v[46:47], v[44:45]
	v_fma_f64 v[46:47], v[74:75], s[20:21], -v[174:175]
	v_mul_f64 v[174:175], v[134:135], s[44:45]
	s_delay_alu instid0(VALU_DEP_4) | instskip(SKIP_1) | instid1(VALU_DEP_4)
	v_add_f64 v[38:39], v[42:43], v[38:39]
	v_fma_f64 v[42:43], v[64:65], s[44:45], v[204:205]
	v_add_f64 v[36:37], v[46:47], v[36:37]
	v_fma_f64 v[46:47], v[64:65], s[22:23], v[204:205]
	v_mul_f64 v[204:205], v[78:79], s[2:3]
	s_delay_alu instid0(VALU_DEP_4) | instskip(SKIP_1) | instid1(VALU_DEP_4)
	v_add_f64 v[40:41], v[42:43], v[40:41]
	v_fma_f64 v[42:43], v[80:81], s[14:15], v[206:207]
	v_add_f64 v[44:45], v[46:47], v[44:45]
	v_fma_f64 v[46:47], v[80:81], s[14:15], -v[206:207]
	v_mul_f64 v[206:207], v[90:91], s[42:43]
	s_delay_alu instid0(VALU_DEP_4) | instskip(SKIP_1) | instid1(VALU_DEP_4)
	v_add_f64 v[38:39], v[42:43], v[38:39]
	v_fma_f64 v[42:43], v[72:73], s[34:35], v[208:209]
	v_add_f64 v[36:37], v[46:47], v[36:37]
	v_fma_f64 v[46:47], v[72:73], s[40:41], v[208:209]
	v_mul_f64 v[208:209], v[82:83], s[8:9]
	s_delay_alu instid0(VALU_DEP_4) | instskip(SKIP_1) | instid1(VALU_DEP_4)
	v_add_f64 v[42:43], v[42:43], v[40:41]
	v_fma_f64 v[40:41], v[92:93], s[2:3], v[210:211]
	v_add_f64 v[44:45], v[46:47], v[44:45]
	v_fma_f64 v[46:47], v[92:93], s[2:3], -v[210:211]
	v_mul_f64 v[210:211], v[86:87], s[36:37]
	s_delay_alu instid0(VALU_DEP_4) | instskip(SKIP_1) | instid1(VALU_DEP_4)
	v_add_f64 v[40:41], v[40:41], v[38:39]
	v_mul_f64 v[38:39], v[94:95], s[2:3]
	v_add_f64 v[36:37], v[46:47], v[36:37]
	s_delay_alu instid0(VALU_DEP_2) | instskip(SKIP_1) | instid1(VALU_DEP_2)
	v_fma_f64 v[212:213], v[84:85], s[38:39], v[38:39]
	v_fma_f64 v[38:39], v[84:85], s[30:31], v[38:39]
	v_add_f64 v[42:43], v[212:213], v[42:43]
	s_delay_alu instid0(VALU_DEP_2) | instskip(SKIP_1) | instid1(VALU_DEP_1)
	v_add_f64 v[38:39], v[38:39], v[44:45]
	v_mul_f64 v[44:45], v[142:143], s[26:27]
	v_fma_f64 v[46:47], v[62:63], s[0:1], v[44:45]
	v_fma_f64 v[44:45], v[62:63], s[0:1], -v[44:45]
	s_delay_alu instid0(VALU_DEP_2) | instskip(NEXT) | instid1(VALU_DEP_2)
	v_add_f64 v[46:47], v[46:47], v[180:181]
	v_add_f64 v[44:45], v[44:45], v[184:185]
	v_mul_f64 v[180:181], v[106:107], s[16:17]
	s_delay_alu instid0(VALU_DEP_3) | instskip(SKIP_1) | instid1(VALU_DEP_4)
	v_add_f64 v[46:47], v[50:51], v[46:47]
	v_fma_f64 v[50:51], v[58:59], s[52:53], v[172:173]
	v_add_f64 v[44:45], v[170:171], v[44:45]
	v_fma_f64 v[170:171], v[58:59], s[46:47], v[172:173]
	v_mul_f64 v[172:173], v[142:143], s[38:39]
	s_delay_alu instid0(VALU_DEP_4) | instskip(SKIP_1) | instid1(VALU_DEP_4)
	v_add_f64 v[48:49], v[50:51], v[48:49]
	v_fma_f64 v[50:51], v[54:55], s[20:21], v[174:175]
	v_add_f64 v[168:169], v[170:171], v[168:169]
	v_fma_f64 v[170:171], v[54:55], s[20:21], -v[174:175]
	v_mul_f64 v[174:175], v[140:141], s[2:3]
	s_delay_alu instid0(VALU_DEP_4) | instskip(SKIP_1) | instid1(VALU_DEP_4)
	v_add_f64 v[46:47], v[50:51], v[46:47]
	v_fma_f64 v[50:51], v[60:61], s[22:23], v[176:177]
	v_add_f64 v[44:45], v[170:171], v[44:45]
	v_fma_f64 v[170:171], v[60:61], s[44:45], v[176:177]
	v_mul_f64 v[176:177], v[138:139], s[36:37]
	s_delay_alu instid0(VALU_DEP_4) | instskip(SKIP_1) | instid1(VALU_DEP_4)
	v_add_f64 v[48:49], v[50:51], v[48:49]
	v_fma_f64 v[50:51], v[66:67], s[16:17], v[178:179]
	v_add_f64 v[168:169], v[170:171], v[168:169]
	v_fma_f64 v[170:171], v[66:67], s[16:17], -v[178:179]
	v_fma_f64 v[178:179], v[56:57], s[18:19], v[176:177]
	v_fma_f64 v[176:177], v[56:57], s[18:19], -v[176:177]
	v_add_f64 v[46:47], v[50:51], v[46:47]
	v_fma_f64 v[50:51], v[52:53], s[50:51], v[180:181]
	v_add_f64 v[44:45], v[170:171], v[44:45]
	v_fma_f64 v[170:171], v[52:53], s[28:29], v[180:181]
	s_delay_alu instid0(VALU_DEP_3) | instskip(SKIP_1) | instid1(VALU_DEP_3)
	v_add_f64 v[48:49], v[50:51], v[48:49]
	v_fma_f64 v[50:51], v[74:75], s[2:3], v[182:183]
	v_add_f64 v[168:169], v[170:171], v[168:169]
	v_fma_f64 v[170:171], v[74:75], s[2:3], -v[182:183]
	s_delay_alu instid0(VALU_DEP_3) | instskip(SKIP_1) | instid1(VALU_DEP_3)
	v_add_f64 v[46:47], v[50:51], v[46:47]
	v_fma_f64 v[50:51], v[64:65], s[38:39], v[204:205]
	v_add_f64 v[44:45], v[170:171], v[44:45]
	v_fma_f64 v[170:171], v[64:65], s[30:31], v[204:205]
	s_delay_alu instid0(VALU_DEP_3) | instskip(SKIP_1) | instid1(VALU_DEP_3)
	v_add_f64 v[48:49], v[50:51], v[48:49]
	v_fma_f64 v[50:51], v[80:81], s[8:9], v[206:207]
	v_add_f64 v[168:169], v[170:171], v[168:169]
	v_fma_f64 v[170:171], v[80:81], s[8:9], -v[206:207]
	s_delay_alu instid0(VALU_DEP_3) | instskip(SKIP_1) | instid1(VALU_DEP_3)
	;; [unrolled: 10-line block ×3, first 2 shown]
	v_add_f64 v[48:49], v[48:49], v[46:47]
	v_mul_f64 v[46:47], v[94:95], s[18:19]
	v_add_f64 v[44:45], v[170:171], v[44:45]
	v_fma_f64 v[170:171], v[68:69], s[30:31], v[174:175]
	v_fma_f64 v[174:175], v[68:69], s[38:39], v[174:175]
	s_delay_alu instid0(VALU_DEP_4) | instskip(SKIP_1) | instid1(VALU_DEP_4)
	v_fma_f64 v[212:213], v[84:85], s[54:55], v[46:47]
	v_fma_f64 v[46:47], v[84:85], s[36:37], v[46:47]
	v_add_f64 v[170:171], v[170:171], v[190:191]
	s_delay_alu instid0(VALU_DEP_4) | instskip(NEXT) | instid1(VALU_DEP_4)
	v_add_f64 v[174:175], v[174:175], v[194:195]
	v_add_f64 v[50:51], v[212:213], v[50:51]
	s_delay_alu instid0(VALU_DEP_4) | instskip(SKIP_2) | instid1(VALU_DEP_2)
	v_add_f64 v[46:47], v[46:47], v[168:169]
	v_fma_f64 v[168:169], v[62:63], s[2:3], v[172:173]
	v_fma_f64 v[172:173], v[62:63], s[2:3], -v[172:173]
	v_add_f64 v[168:169], v[168:169], v[188:189]
	s_delay_alu instid0(VALU_DEP_2) | instskip(NEXT) | instid1(VALU_DEP_2)
	v_add_f64 v[172:173], v[172:173], v[192:193]
	v_add_f64 v[168:169], v[178:179], v[168:169]
	v_mul_f64 v[178:179], v[136:137], s[18:19]
	s_delay_alu instid0(VALU_DEP_3) | instskip(NEXT) | instid1(VALU_DEP_2)
	v_add_f64 v[172:173], v[176:177], v[172:173]
	v_fma_f64 v[180:181], v[58:59], s[54:55], v[178:179]
	v_fma_f64 v[176:177], v[58:59], s[36:37], v[178:179]
	s_delay_alu instid0(VALU_DEP_2) | instskip(SKIP_1) | instid1(VALU_DEP_3)
	v_add_f64 v[170:171], v[180:181], v[170:171]
	v_mul_f64 v[180:181], v[134:135], s[28:29]
	v_add_f64 v[174:175], v[176:177], v[174:175]
	s_delay_alu instid0(VALU_DEP_2) | instskip(SKIP_2) | instid1(VALU_DEP_3)
	v_fma_f64 v[182:183], v[54:55], s[16:17], v[180:181]
	v_fma_f64 v[176:177], v[54:55], s[16:17], -v[180:181]
	v_mul_f64 v[180:181], v[142:143], s[46:47]
	v_add_f64 v[168:169], v[182:183], v[168:169]
	v_mul_f64 v[182:183], v[132:133], s[16:17]
	s_delay_alu instid0(VALU_DEP_4) | instskip(NEXT) | instid1(VALU_DEP_2)
	v_add_f64 v[172:173], v[176:177], v[172:173]
	v_fma_f64 v[184:185], v[60:61], s[50:51], v[182:183]
	v_fma_f64 v[176:177], v[60:61], s[28:29], v[182:183]
	v_mul_f64 v[182:183], v[140:141], s[12:13]
	s_delay_alu instid0(VALU_DEP_3) | instskip(SKIP_1) | instid1(VALU_DEP_4)
	v_add_f64 v[170:171], v[184:185], v[170:171]
	v_mul_f64 v[184:185], v[124:125], s[26:27]
	v_add_f64 v[174:175], v[176:177], v[174:175]
	s_delay_alu instid0(VALU_DEP_2) | instskip(SKIP_2) | instid1(VALU_DEP_3)
	v_fma_f64 v[186:187], v[66:67], s[0:1], v[184:185]
	v_fma_f64 v[176:177], v[66:67], s[0:1], -v[184:185]
	v_mul_f64 v[184:185], v[138:139], s[22:23]
	v_add_f64 v[168:169], v[186:187], v[168:169]
	v_mul_f64 v[186:187], v[106:107], s[0:1]
	s_delay_alu instid0(VALU_DEP_4) | instskip(NEXT) | instid1(VALU_DEP_2)
	v_add_f64 v[172:173], v[176:177], v[172:173]
	v_fma_f64 v[188:189], v[52:53], s[48:49], v[186:187]
	v_fma_f64 v[176:177], v[52:53], s[26:27], v[186:187]
	;; [unrolled: 1-line block ×3, first 2 shown]
	v_fma_f64 v[184:185], v[56:57], s[20:21], -v[184:185]
	s_delay_alu instid0(VALU_DEP_4) | instskip(SKIP_2) | instid1(VALU_DEP_2)
	v_add_f64 v[170:171], v[188:189], v[170:171]
	v_mul_f64 v[188:189], v[96:97], s[34:35]
	v_add_f64 v[174:175], v[176:177], v[174:175]
	v_fma_f64 v[190:191], v[74:75], s[14:15], v[188:189]
	v_fma_f64 v[176:177], v[74:75], s[14:15], -v[188:189]
	s_delay_alu instid0(VALU_DEP_2) | instskip(SKIP_1) | instid1(VALU_DEP_3)
	v_add_f64 v[168:169], v[190:191], v[168:169]
	v_mul_f64 v[190:191], v[78:79], s[14:15]
	v_add_f64 v[172:173], v[176:177], v[172:173]
	s_delay_alu instid0(VALU_DEP_2) | instskip(SKIP_1) | instid1(VALU_DEP_2)
	v_fma_f64 v[204:205], v[64:65], s[40:41], v[190:191]
	v_fma_f64 v[176:177], v[64:65], s[34:35], v[190:191]
	v_add_f64 v[170:171], v[204:205], v[170:171]
	v_mul_f64 v[204:205], v[90:91], s[22:23]
	s_delay_alu instid0(VALU_DEP_3) | instskip(NEXT) | instid1(VALU_DEP_2)
	v_add_f64 v[174:175], v[176:177], v[174:175]
	v_fma_f64 v[206:207], v[80:81], s[20:21], v[204:205]
	v_fma_f64 v[176:177], v[80:81], s[20:21], -v[204:205]
	s_delay_alu instid0(VALU_DEP_2) | instskip(SKIP_1) | instid1(VALU_DEP_3)
	v_add_f64 v[168:169], v[206:207], v[168:169]
	v_mul_f64 v[206:207], v[82:83], s[20:21]
	v_add_f64 v[172:173], v[176:177], v[172:173]
	s_delay_alu instid0(VALU_DEP_2) | instskip(SKIP_1) | instid1(VALU_DEP_2)
	v_fma_f64 v[208:209], v[72:73], s[44:45], v[206:207]
	v_fma_f64 v[176:177], v[72:73], s[22:23], v[206:207]
	v_add_f64 v[170:171], v[208:209], v[170:171]
	v_mul_f64 v[208:209], v[86:87], s[24:25]
	s_delay_alu instid0(VALU_DEP_3) | instskip(NEXT) | instid1(VALU_DEP_2)
	v_add_f64 v[174:175], v[176:177], v[174:175]
	v_fma_f64 v[210:211], v[92:93], s[8:9], v[208:209]
	v_fma_f64 v[176:177], v[92:93], s[8:9], -v[208:209]
	s_delay_alu instid0(VALU_DEP_2) | instskip(SKIP_1) | instid1(VALU_DEP_3)
	v_add_f64 v[168:169], v[210:211], v[168:169]
	v_mul_f64 v[210:211], v[94:95], s[8:9]
	v_add_f64 v[172:173], v[176:177], v[172:173]
	v_fma_f64 v[176:177], v[62:63], s[12:13], v[180:181]
	v_fma_f64 v[180:181], v[62:63], s[12:13], -v[180:181]
	s_delay_alu instid0(VALU_DEP_4) | instskip(SKIP_1) | instid1(VALU_DEP_4)
	v_fma_f64 v[178:179], v[84:85], s[24:25], v[210:211]
	v_fma_f64 v[212:213], v[84:85], s[42:43], v[210:211]
	v_add_f64 v[176:177], v[176:177], v[196:197]
	s_delay_alu instid0(VALU_DEP_4) | instskip(NEXT) | instid1(VALU_DEP_4)
	v_add_f64 v[180:181], v[180:181], v[200:201]
	v_add_f64 v[174:175], v[178:179], v[174:175]
	v_fma_f64 v[178:179], v[68:69], s[52:53], v[182:183]
	s_delay_alu instid0(VALU_DEP_4)
	v_add_f64 v[176:177], v[186:187], v[176:177]
	v_mul_f64 v[186:187], v[136:137], s[20:21]
	v_fma_f64 v[182:183], v[68:69], s[46:47], v[182:183]
	v_add_f64 v[180:181], v[184:185], v[180:181]
	v_add_f64 v[170:171], v[212:213], v[170:171]
	v_add_f64 v[178:179], v[178:179], v[198:199]
	v_fma_f64 v[188:189], v[58:59], s[44:45], v[186:187]
	v_add_f64 v[182:183], v[182:183], v[202:203]
	v_fma_f64 v[184:185], v[58:59], s[22:23], v[186:187]
	s_delay_alu instid0(VALU_DEP_3) | instskip(SKIP_1) | instid1(VALU_DEP_3)
	v_add_f64 v[178:179], v[188:189], v[178:179]
	v_mul_f64 v[188:189], v[134:135], s[30:31]
	v_add_f64 v[182:183], v[184:185], v[182:183]
	s_delay_alu instid0(VALU_DEP_2) | instskip(SKIP_1) | instid1(VALU_DEP_2)
	v_fma_f64 v[190:191], v[54:55], s[2:3], v[188:189]
	v_fma_f64 v[184:185], v[54:55], s[2:3], -v[188:189]
	v_add_f64 v[176:177], v[190:191], v[176:177]
	v_mul_f64 v[190:191], v[132:133], s[2:3]
	s_delay_alu instid0(VALU_DEP_3) | instskip(NEXT) | instid1(VALU_DEP_2)
	v_add_f64 v[180:181], v[184:185], v[180:181]
	v_fma_f64 v[192:193], v[60:61], s[38:39], v[190:191]
	v_fma_f64 v[184:185], v[60:61], s[30:31], v[190:191]
	s_delay_alu instid0(VALU_DEP_2) | instskip(SKIP_1) | instid1(VALU_DEP_3)
	v_add_f64 v[178:179], v[192:193], v[178:179]
	v_mul_f64 v[192:193], v[124:125], s[34:35]
	v_add_f64 v[182:183], v[184:185], v[182:183]
	s_delay_alu instid0(VALU_DEP_2) | instskip(SKIP_1) | instid1(VALU_DEP_2)
	v_fma_f64 v[194:195], v[66:67], s[14:15], v[192:193]
	v_fma_f64 v[184:185], v[66:67], s[14:15], -v[192:193]
	v_add_f64 v[176:177], v[194:195], v[176:177]
	v_mul_f64 v[194:195], v[106:107], s[14:15]
	s_delay_alu instid0(VALU_DEP_3) | instskip(NEXT) | instid1(VALU_DEP_2)
	v_add_f64 v[180:181], v[184:185], v[180:181]
	v_fma_f64 v[196:197], v[52:53], s[40:41], v[194:195]
	v_fma_f64 v[184:185], v[52:53], s[34:35], v[194:195]
	s_delay_alu instid0(VALU_DEP_2) | instskip(SKIP_1) | instid1(VALU_DEP_3)
	;; [unrolled: 13-line block ×4, first 2 shown]
	v_add_f64 v[178:179], v[208:209], v[178:179]
	v_mul_f64 v[208:209], v[86:87], s[50:51]
	v_add_f64 v[182:183], v[184:185], v[182:183]
	s_delay_alu instid0(VALU_DEP_2) | instskip(SKIP_1) | instid1(VALU_DEP_2)
	v_fma_f64 v[210:211], v[92:93], s[16:17], v[208:209]
	v_fma_f64 v[184:185], v[92:93], s[16:17], -v[208:209]
	v_add_f64 v[176:177], v[210:211], v[176:177]
	v_mul_f64 v[210:211], v[94:95], s[16:17]
	s_delay_alu instid0(VALU_DEP_3) | instskip(SKIP_2) | instid1(VALU_DEP_4)
	v_add_f64 v[180:181], v[184:185], v[180:181]
	v_mul_f64 v[184:185], v[142:143], s[50:51]
	v_mul_f64 v[142:143], v[142:143], s[44:45]
	v_fma_f64 v[186:187], v[84:85], s[50:51], v[210:211]
	v_fma_f64 v[212:213], v[84:85], s[28:29], v[210:211]
	v_mul_f64 v[210:211], v[86:87], s[52:53]
	v_mul_f64 v[86:87], v[86:87], s[34:35]
	s_delay_alu instid0(VALU_DEP_4) | instskip(SKIP_4) | instid1(VALU_DEP_4)
	v_add_f64 v[182:183], v[186:187], v[182:183]
	v_fma_f64 v[186:187], v[62:63], s[16:17], v[184:185]
	v_fma_f64 v[184:185], v[62:63], s[16:17], -v[184:185]
	v_add_f64 v[178:179], v[212:213], v[178:179]
	v_mul_f64 v[212:213], v[94:95], s[12:13]
	v_add_f64 v[162:163], v[186:187], v[162:163]
	v_mul_f64 v[186:187], v[140:141], s[16:17]
	;; [unrolled: 2-line block ×3, first 2 shown]
	s_delay_alu instid0(VALU_DEP_3) | instskip(SKIP_2) | instid1(VALU_DEP_3)
	v_fma_f64 v[188:189], v[68:69], s[28:29], v[186:187]
	v_fma_f64 v[184:185], v[68:69], s[50:51], v[186:187]
	;; [unrolled: 1-line block ×3, first 2 shown]
	v_add_f64 v[160:161], v[188:189], v[160:161]
	v_mul_f64 v[188:189], v[138:139], s[40:41]
	s_delay_alu instid0(VALU_DEP_4) | instskip(SKIP_1) | instid1(VALU_DEP_3)
	v_add_f64 v[156:157], v[184:185], v[156:157]
	v_mul_f64 v[138:139], v[138:139], s[30:31]
	v_fma_f64 v[190:191], v[56:57], s[14:15], v[188:189]
	v_fma_f64 v[184:185], v[56:57], s[14:15], -v[188:189]
	s_delay_alu instid0(VALU_DEP_2) | instskip(SKIP_1) | instid1(VALU_DEP_3)
	v_add_f64 v[162:163], v[190:191], v[162:163]
	v_mul_f64 v[190:191], v[136:137], s[14:15]
	v_add_f64 v[158:159], v[184:185], v[158:159]
	v_mul_f64 v[136:137], v[136:137], s[2:3]
	s_delay_alu instid0(VALU_DEP_3) | instskip(SKIP_1) | instid1(VALU_DEP_2)
	v_fma_f64 v[192:193], v[58:59], s[34:35], v[190:191]
	v_fma_f64 v[184:185], v[58:59], s[40:41], v[190:191]
	v_add_f64 v[160:161], v[192:193], v[160:161]
	v_mul_f64 v[192:193], v[134:135], s[42:43]
	s_delay_alu instid0(VALU_DEP_3) | instskip(SKIP_1) | instid1(VALU_DEP_3)
	v_add_f64 v[156:157], v[184:185], v[156:157]
	v_mul_f64 v[134:135], v[134:135], s[36:37]
	v_fma_f64 v[194:195], v[54:55], s[8:9], v[192:193]
	v_fma_f64 v[184:185], v[54:55], s[8:9], -v[192:193]
	s_delay_alu instid0(VALU_DEP_2) | instskip(SKIP_1) | instid1(VALU_DEP_3)
	v_add_f64 v[162:163], v[194:195], v[162:163]
	v_mul_f64 v[194:195], v[132:133], s[8:9]
	v_add_f64 v[158:159], v[184:185], v[158:159]
	v_mul_f64 v[132:133], v[132:133], s[18:19]
	s_delay_alu instid0(VALU_DEP_3) | instskip(SKIP_1) | instid1(VALU_DEP_2)
	v_fma_f64 v[196:197], v[60:61], s[24:25], v[194:195]
	v_fma_f64 v[184:185], v[60:61], s[42:43], v[194:195]
	v_add_f64 v[160:161], v[196:197], v[160:161]
	v_mul_f64 v[196:197], v[124:125], s[22:23]
	s_delay_alu instid0(VALU_DEP_3) | instskip(SKIP_1) | instid1(VALU_DEP_3)
	v_add_f64 v[156:157], v[184:185], v[156:157]
	v_mul_f64 v[124:125], v[124:125], s[24:25]
	v_fma_f64 v[198:199], v[66:67], s[20:21], v[196:197]
	v_fma_f64 v[184:185], v[66:67], s[20:21], -v[196:197]
	s_delay_alu instid0(VALU_DEP_2) | instskip(SKIP_1) | instid1(VALU_DEP_3)
	v_add_f64 v[162:163], v[198:199], v[162:163]
	v_mul_f64 v[198:199], v[106:107], s[20:21]
	v_add_f64 v[158:159], v[184:185], v[158:159]
	v_mul_f64 v[106:107], v[106:107], s[8:9]
	s_delay_alu instid0(VALU_DEP_3) | instskip(SKIP_1) | instid1(VALU_DEP_2)
	v_fma_f64 v[200:201], v[52:53], s[44:45], v[198:199]
	v_fma_f64 v[184:185], v[52:53], s[22:23], v[198:199]
	v_add_f64 v[160:161], v[200:201], v[160:161]
	v_mul_f64 v[200:201], v[96:97], s[26:27]
	s_delay_alu instid0(VALU_DEP_3) | instskip(NEXT) | instid1(VALU_DEP_2)
	v_add_f64 v[156:157], v[184:185], v[156:157]
	v_fma_f64 v[202:203], v[74:75], s[0:1], v[200:201]
	v_fma_f64 v[184:185], v[74:75], s[0:1], -v[200:201]
	s_delay_alu instid0(VALU_DEP_2) | instskip(SKIP_1) | instid1(VALU_DEP_3)
	v_add_f64 v[162:163], v[202:203], v[162:163]
	v_mul_f64 v[202:203], v[78:79], s[0:1]
	v_add_f64 v[158:159], v[184:185], v[158:159]
	v_mul_f64 v[78:79], v[78:79], s[16:17]
	s_delay_alu instid0(VALU_DEP_3) | instskip(SKIP_1) | instid1(VALU_DEP_2)
	v_fma_f64 v[204:205], v[64:65], s[48:49], v[202:203]
	v_fma_f64 v[184:185], v[64:65], s[26:27], v[202:203]
	v_add_f64 v[160:161], v[204:205], v[160:161]
	v_mul_f64 v[204:205], v[90:91], s[36:37]
	s_delay_alu instid0(VALU_DEP_3) | instskip(SKIP_1) | instid1(VALU_DEP_3)
	v_add_f64 v[156:157], v[184:185], v[156:157]
	v_mul_f64 v[90:91], v[90:91], s[52:53]
	v_fma_f64 v[206:207], v[80:81], s[18:19], v[204:205]
	v_fma_f64 v[184:185], v[80:81], s[18:19], -v[204:205]
	s_delay_alu instid0(VALU_DEP_2) | instskip(SKIP_1) | instid1(VALU_DEP_3)
	v_add_f64 v[162:163], v[206:207], v[162:163]
	v_mul_f64 v[206:207], v[82:83], s[18:19]
	v_add_f64 v[158:159], v[184:185], v[158:159]
	v_mul_f64 v[82:83], v[82:83], s[12:13]
	s_delay_alu instid0(VALU_DEP_3) | instskip(SKIP_1) | instid1(VALU_DEP_2)
	v_fma_f64 v[184:185], v[72:73], s[36:37], v[206:207]
	v_fma_f64 v[208:209], v[72:73], s[54:55], v[206:207]
	v_add_f64 v[184:185], v[184:185], v[156:157]
	v_fma_f64 v[156:157], v[92:93], s[12:13], -v[210:211]
	s_delay_alu instid0(VALU_DEP_3) | instskip(SKIP_1) | instid1(VALU_DEP_3)
	v_add_f64 v[208:209], v[208:209], v[160:161]
	v_fma_f64 v[160:161], v[92:93], s[12:13], v[210:211]
	v_add_f64 v[156:157], v[156:157], v[158:159]
	v_add_f64 v[158:159], v[186:187], v[184:185]
	v_fma_f64 v[184:185], v[62:63], s[20:21], v[142:143]
	v_fma_f64 v[142:143], v[62:63], s[20:21], -v[142:143]
	v_fma_f64 v[62:63], v[62:63], s[18:19], -v[98:99]
	v_add_f64 v[160:161], v[160:161], v[162:163]
	v_fma_f64 v[162:163], v[84:85], s[46:47], v[212:213]
	v_add_f64 v[154:155], v[184:185], v[154:155]
	v_fma_f64 v[184:185], v[68:69], s[22:23], v[140:141]
	v_fma_f64 v[140:141], v[68:69], s[44:45], v[140:141]
	;; [unrolled: 1-line block ×3, first 2 shown]
	v_add_f64 v[142:143], v[142:143], v[150:151]
	v_add_f64 v[62:63], v[62:63], v[70:71]
	;; [unrolled: 1-line block ×4, first 2 shown]
	v_fma_f64 v[184:185], v[56:57], s[2:3], v[138:139]
	v_add_f64 v[140:141], v[140:141], v[148:149]
	v_fma_f64 v[138:139], v[56:57], s[2:3], -v[138:139]
	v_add_f64 v[68:69], v[68:69], v[76:77]
	v_fma_f64 v[56:57], v[56:57], s[16:17], -v[100:101]
	v_add_f64 v[154:155], v[184:185], v[154:155]
	v_fma_f64 v[184:185], v[58:59], s[38:39], v[136:137]
	v_fma_f64 v[136:137], v[58:59], s[30:31], v[136:137]
	;; [unrolled: 1-line block ×3, first 2 shown]
	v_add_f64 v[138:139], v[138:139], v[142:143]
	v_add_f64 v[56:57], v[56:57], v[62:63]
	;; [unrolled: 1-line block ×3, first 2 shown]
	v_fma_f64 v[184:185], v[54:55], s[18:19], v[134:135]
	v_add_f64 v[136:137], v[136:137], v[140:141]
	v_fma_f64 v[134:135], v[54:55], s[18:19], -v[134:135]
	v_add_f64 v[58:59], v[58:59], v[68:69]
	v_fma_f64 v[54:55], v[54:55], s[14:15], -v[104:105]
	v_add_nc_u32_e32 v105, 0x110, v167
	v_add_nc_u32_e32 v104, 0x220, v167
	v_add_f64 v[154:155], v[184:185], v[154:155]
	v_fma_f64 v[184:185], v[60:61], s[54:55], v[132:133]
	v_fma_f64 v[132:133], v[60:61], s[36:37], v[132:133]
	;; [unrolled: 1-line block ×3, first 2 shown]
	v_add_f64 v[134:135], v[134:135], v[138:139]
	v_add_f64 v[54:55], v[54:55], v[56:57]
	;; [unrolled: 1-line block ×3, first 2 shown]
	v_fma_f64 v[184:185], v[66:67], s[8:9], v[124:125]
	v_add_f64 v[132:133], v[132:133], v[136:137]
	v_fma_f64 v[124:125], v[66:67], s[8:9], -v[124:125]
	v_add_f64 v[56:57], v[60:61], v[58:59]
	v_fma_f64 v[58:59], v[66:67], s[12:13], -v[118:119]
	v_add_f64 v[154:155], v[184:185], v[154:155]
	v_fma_f64 v[184:185], v[52:53], s[42:43], v[106:107]
	v_fma_f64 v[106:107], v[52:53], s[24:25], v[106:107]
	;; [unrolled: 1-line block ×3, first 2 shown]
	v_add_f64 v[124:125], v[124:125], v[134:135]
	v_add_f64 v[54:55], v[58:59], v[54:55]
	v_fma_f64 v[58:59], v[64:65], s[24:25], v[126:127]
	v_add_f64 v[152:153], v[184:185], v[152:153]
	v_mul_f64 v[184:185], v[96:97], s[50:51]
	v_add_f64 v[106:107], v[106:107], v[132:133]
	v_add_f64 v[52:53], v[52:53], v[56:57]
	v_fma_f64 v[56:57], v[74:75], s[8:9], -v[122:123]
	s_delay_alu instid0(VALU_DEP_4) | instskip(SKIP_1) | instid1(VALU_DEP_4)
	v_fma_f64 v[96:97], v[74:75], s[16:17], v[184:185]
	v_fma_f64 v[132:133], v[74:75], s[16:17], -v[184:185]
	v_add_f64 v[52:53], v[58:59], v[52:53]
	s_delay_alu instid0(VALU_DEP_4)
	v_add_f64 v[54:55], v[56:57], v[54:55]
	v_fma_f64 v[56:57], v[80:81], s[2:3], -v[128:129]
	v_fma_f64 v[58:59], v[72:73], s[30:31], v[130:131]
	v_add_f64 v[96:97], v[96:97], v[154:155]
	v_fma_f64 v[154:155], v[64:65], s[28:29], v[78:79]
	v_fma_f64 v[78:79], v[64:65], s[50:51], v[78:79]
	v_add_f64 v[124:125], v[132:133], v[124:125]
	v_add_f64 v[54:55], v[56:57], v[54:55]
	;; [unrolled: 1-line block ×3, first 2 shown]
	v_fma_f64 v[52:53], v[92:93], s[0:1], -v[144:145]
	v_fma_f64 v[58:59], v[84:85], s[26:27], v[146:147]
	v_add_f64 v[152:153], v[154:155], v[152:153]
	v_fma_f64 v[154:155], v[80:81], s[12:13], v[90:91]
	v_add_f64 v[78:79], v[78:79], v[106:107]
	v_fma_f64 v[90:91], v[80:81], s[12:13], -v[90:91]
	v_add_f64 v[52:53], v[52:53], v[54:55]
	v_add_f64 v[54:55], v[58:59], v[56:57]
	;; [unrolled: 1-line block ×3, first 2 shown]
	v_fma_f64 v[154:155], v[72:73], s[46:47], v[82:83]
	v_fma_f64 v[82:83], v[72:73], s[52:53], v[82:83]
	v_add_f64 v[90:91], v[90:91], v[124:125]
	s_delay_alu instid0(VALU_DEP_3) | instskip(SKIP_4) | instid1(VALU_DEP_4)
	v_add_f64 v[152:153], v[154:155], v[152:153]
	v_mul_f64 v[154:155], v[94:95], s[14:15]
	v_fma_f64 v[94:95], v[92:93], s[14:15], v[86:87]
	v_add_f64 v[78:79], v[82:83], v[78:79]
	v_fma_f64 v[82:83], v[92:93], s[14:15], -v[86:87]
	v_fma_f64 v[86:87], v[84:85], s[34:35], v[154:155]
	s_delay_alu instid0(VALU_DEP_4) | instskip(SKIP_1) | instid1(VALU_DEP_4)
	v_add_f64 v[94:95], v[94:95], v[96:97]
	v_fma_f64 v[96:97], v[84:85], s[40:41], v[154:155]
	v_add_f64 v[132:133], v[82:83], v[90:91]
	s_delay_alu instid0(VALU_DEP_4) | instskip(NEXT) | instid1(VALU_DEP_3)
	v_add_f64 v[134:135], v[86:87], v[78:79]
	v_add_f64 v[96:97], v[96:97], v[152:153]
	ds_store_b128 v165, v[40:43] offset:48
	ds_store_b128 v165, v[48:51] offset:64
	ds_store_b128 v165, v[168:171] offset:80
	ds_store_b128 v165, v[176:179] offset:96
	ds_store_b128 v165, v[160:163] offset:112
	ds_store_b128 v165, v[94:97] offset:128
	ds_store_b128 v165, v[132:135] offset:144
	ds_store_b128 v165, v[156:159] offset:160
	ds_store_b128 v165, v[180:183] offset:176
	ds_store_b128 v165, v[172:175] offset:192
	ds_store_b128 v165, v[44:47] offset:208
	ds_store_b128 v165, v[36:39] offset:224
	ds_store_b128 v165, v[28:31] offset:240
	ds_store_b128 v165, v[52:55] offset:256
	s_and_saveexec_b32 s33, vcc_lo
	s_cbranch_execz .LBB0_13
; %bb.12:
	s_clause 0x3
	scratch_load_b128 v[36:39], off, off offset:68
	scratch_load_b128 v[44:47], off, off offset:84
	scratch_load_b128 v[28:31], off, off offset:100
	scratch_load_b128 v[40:43], off, off offset:116
	v_add_f64 v[20:21], v[2:3], v[6:7]
	v_add_f64 v[22:23], v[0:1], v[4:5]
	s_clause 0x1
	scratch_load_b128 v[64:67], off, off offset:20
	scratch_load_b128 v[68:71], off, off offset:4
	v_add_f64 v[100:101], v[8:9], -v[219:220]
	v_add_f64 v[72:73], v[10:11], -v[221:222]
	scratch_load_b128 v[52:55], off, off offset:36 ; 16-byte Folded Reload
	v_add_f64 v[20:21], v[10:11], v[20:21]
	v_add_f64 v[22:23], v[8:9], v[22:23]
	v_mul_f64 v[201:202], v[100:101], s[40:41]
	v_mul_f64 v[203:204], v[72:73], s[40:41]
	s_delay_alu instid0(VALU_DEP_4) | instskip(NEXT) | instid1(VALU_DEP_4)
	v_add_f64 v[20:21], v[14:15], v[20:21]
	v_add_f64 v[22:23], v[12:13], v[22:23]
	s_delay_alu instid0(VALU_DEP_2) | instskip(NEXT) | instid1(VALU_DEP_2)
	v_add_f64 v[20:21], v[250:251], v[20:21]
	v_add_f64 v[22:23], v[248:249], v[22:23]
	s_delay_alu instid0(VALU_DEP_2) | instskip(NEXT) | instid1(VALU_DEP_2)
	;; [unrolled: 3-line block ×3, first 2 shown]
	v_add_f64 v[20:21], v[254:255], v[20:21]
	v_add_f64 v[22:23], v[252:253], v[22:23]
	s_waitcnt vmcnt(6)
	s_delay_alu instid0(VALU_DEP_2) | instskip(NEXT) | instid1(VALU_DEP_2)
	v_add_f64 v[20:21], v[38:39], v[20:21]
	v_add_f64 v[22:23], v[36:37], v[22:23]
	s_waitcnt vmcnt(5)
	v_add_f64 v[34:35], v[36:37], v[44:45]
	s_waitcnt vmcnt(3)
	v_add_f64 v[32:33], v[28:29], -v[40:41]
	v_add_f64 v[148:149], v[30:31], -v[42:43]
	v_add_f64 v[74:75], v[30:31], v[42:43]
	v_add_f64 v[142:143], v[28:29], v[40:41]
	s_waitcnt vmcnt(2)
	v_add_f64 v[60:61], v[250:251], -v[66:67]
	v_add_f64 v[62:63], v[248:249], -v[64:65]
	s_waitcnt vmcnt(0)
	v_add_f64 v[58:59], v[16:17], -v[52:53]
	v_add_f64 v[16:17], v[52:53], v[16:17]
	v_add_f64 v[56:57], v[18:19], -v[54:55]
	v_add_f64 v[18:19], v[54:55], v[18:19]
	v_add_f64 v[24:25], v[30:31], v[20:21]
	;; [unrolled: 1-line block ×3, first 2 shown]
	v_mul_f64 v[160:161], v[32:33], s[34:35]
	v_mul_f64 v[162:163], v[148:149], s[34:35]
	;; [unrolled: 1-line block ×13, first 2 shown]
	v_add_f64 v[28:29], v[42:43], v[24:25]
	v_add_f64 v[30:31], v[40:41], v[26:27]
	v_add_f64 v[42:43], v[36:37], -v[44:45]
	v_add_f64 v[40:41], v[38:39], -v[46:47]
	v_add_f64 v[26:27], v[38:39], v[46:47]
	v_mul_f64 v[24:25], v[100:101], s[26:27]
	v_add_f64 v[36:37], v[46:47], v[28:29]
	v_add_f64 v[38:39], v[44:45], v[30:31]
	scratch_load_b128 v[44:47], off, off offset:52 ; 16-byte Folded Reload
	v_mul_f64 v[167:168], v[40:41], s[26:27]
	v_mul_f64 v[193:194], v[42:43], s[30:31]
	;; [unrolled: 1-line block ×3, first 2 shown]
	s_waitcnt vmcnt(0)
	v_add_f64 v[36:37], v[46:47], v[36:37]
	v_add_f64 v[50:51], v[252:253], -v[44:45]
	v_add_f64 v[28:29], v[252:253], v[44:45]
	v_add_f64 v[38:39], v[44:45], v[38:39]
	v_add_f64 v[48:49], v[254:255], -v[46:47]
	v_add_f64 v[30:31], v[254:255], v[46:47]
	v_mul_f64 v[252:253], v[42:43], s[50:51]
	v_mul_f64 v[254:255], v[40:41], s[50:51]
	v_add_f64 v[44:45], v[54:55], v[36:37]
	v_add_f64 v[36:37], v[248:249], v[64:65]
	v_mul_f64 v[189:190], v[50:51], s[24:25]
	v_add_f64 v[46:47], v[52:53], v[38:39]
	v_add_f64 v[38:39], v[250:251], v[66:67]
	v_mul_f64 v[191:192], v[48:49], s[24:25]
	v_mul_f64 v[248:249], v[50:51], s[46:47]
	;; [unrolled: 1-line block ×3, first 2 shown]
	v_add_f64 v[52:53], v[66:67], v[44:45]
	v_add_f64 v[66:67], v[12:13], -v[68:69]
	v_add_f64 v[44:45], v[68:69], v[12:13]
	v_add_f64 v[54:55], v[64:65], v[46:47]
	v_add_f64 v[64:65], v[14:15], -v[70:71]
	v_add_f64 v[46:47], v[70:71], v[14:15]
	v_add_f64 v[12:13], v[70:71], v[52:53]
	;; [unrolled: 1-line block ×7, first 2 shown]
	v_mul_f64 v[150:151], v[64:65], s[28:29]
	v_mul_f64 v[146:147], v[66:67], s[24:25]
	v_mul_f64 v[205:206], v[64:65], s[24:25]
	v_mul_f64 v[22:23], v[64:65], s[46:47]
	v_add_f64 v[8:9], v[221:222], v[12:13]
	v_add_f64 v[12:13], v[0:1], -v[214:215]
	v_mov_b32_e32 v222, v114
	v_add_f64 v[10:11], v[219:220], v[14:15]
	v_add_f64 v[14:15], v[2:3], -v[216:217]
	v_mul_f64 v[220:221], v[64:65], s[48:49]
	v_add_f64 v[2:3], v[216:217], v[8:9]
	v_mul_f64 v[76:77], v[12:13], s[24:25]
	v_mul_f64 v[78:79], v[12:13], s[52:53]
	v_add_f64 v[0:1], v[214:215], v[10:11]
	v_mul_f64 v[106:107], v[14:15], s[24:25]
	v_mul_f64 v[116:117], v[14:15], s[52:53]
	;; [unrolled: 1-line block ×12, first 2 shown]
	v_mov_b32_e32 v217, v166
	v_mul_f64 v[165:166], v[32:33], s[44:45]
	v_mul_f64 v[215:216], v[100:101], s[24:25]
	v_fma_f64 v[90:91], v[68:69], s[8:9], v[76:77]
	v_fma_f64 v[76:77], v[68:69], s[8:9], -v[76:77]
	scratch_store_b128 off, v[0:3], off offset:36 ; 16-byte Folded Spill
	v_fma_f64 v[128:129], v[70:71], s[8:9], -v[106:107]
	v_fma_f64 v[106:107], v[70:71], s[8:9], v[106:107]
	v_fma_f64 v[92:93], v[68:69], s[12:13], v[78:79]
	s_clause 0x1
	scratch_store_b32 off, v104, off offset:4
	scratch_store_b32 off, v105, off offset:20
	v_fma_f64 v[130:131], v[70:71], s[12:13], -v[116:117]
	v_fma_f64 v[88:89], v[68:69], s[2:3], v[10:11]
	v_fma_f64 v[10:11], v[68:69], s[2:3], -v[10:11]
	v_fma_f64 v[78:79], v[68:69], s[12:13], -v[78:79]
	;; [unrolled: 1-line block ×3, first 2 shown]
	v_fma_f64 v[82:83], v[68:69], s[16:17], v[82:83]
	v_fma_f64 v[94:95], v[68:69], s[14:15], v[80:81]
	;; [unrolled: 1-line block ×3, first 2 shown]
	v_fma_f64 v[120:121], v[70:71], s[16:17], -v[120:121]
	v_fma_f64 v[98:99], v[68:69], s[18:19], -v[84:85]
	v_fma_f64 v[84:85], v[68:69], s[18:19], v[84:85]
	v_fma_f64 v[132:133], v[70:71], s[14:15], -v[118:119]
	v_fma_f64 v[86:87], v[68:69], s[0:1], v[8:9]
	v_fma_f64 v[8:9], v[68:69], s[0:1], -v[8:9]
	v_fma_f64 v[80:81], v[68:69], s[14:15], -v[80:81]
	v_fma_f64 v[102:103], v[68:69], s[20:21], -v[12:13]
	v_fma_f64 v[12:13], v[68:69], s[20:21], v[12:13]
	v_mul_f64 v[68:69], v[14:15], s[26:27]
	v_mul_f64 v[104:105], v[14:15], s[30:31]
	;; [unrolled: 1-line block ×3, first 2 shown]
	v_fma_f64 v[136:137], v[70:71], s[18:19], v[122:123]
	v_fma_f64 v[122:123], v[70:71], s[18:19], -v[122:123]
	v_fma_f64 v[116:117], v[70:71], s[12:13], v[116:117]
	v_fma_f64 v[118:119], v[70:71], s[14:15], v[118:119]
	v_add_f64 v[90:91], v[90:91], v[6:7]
	v_add_f64 v[0:1], v[76:77], v[6:7]
	;; [unrolled: 1-line block ×10, first 2 shown]
	v_fma_f64 v[124:125], v[70:71], s[0:1], -v[68:69]
	v_fma_f64 v[68:69], v[70:71], s[0:1], v[68:69]
	v_fma_f64 v[126:127], v[70:71], s[2:3], -v[104:105]
	v_fma_f64 v[104:105], v[70:71], s[2:3], v[104:105]
	v_fma_f64 v[138:139], v[70:71], s[20:21], v[14:15]
	v_fma_f64 v[14:15], v[70:71], s[20:21], -v[14:15]
	v_add_f64 v[116:117], v[116:117], v[4:5]
	v_add_f64 v[118:119], v[118:119], v[4:5]
	v_mul_f64 v[70:71], v[66:67], s[22:23]
	scratch_store_b64 off, v[0:1], off offset:988 ; 8-byte Folded Spill
	v_add_f64 v[0:1], v[106:107], v[4:5]
	v_mov_b32_e32 v106, v218
	v_mul_f64 v[218:219], v[72:73], s[24:25]
	v_mul_f64 v[107:108], v[58:59], s[28:29]
	scratch_store_b64 off, v[10:11], off offset:940 ; 8-byte Folded Spill
	v_add_f64 v[10:11], v[120:121], v[4:5]
	v_mul_f64 v[120:121], v[72:73], s[46:47]
	v_add_f64 v[124:125], v[124:125], v[4:5]
	v_add_f64 v[140:141], v[68:69], v[4:5]
	;; [unrolled: 1-line block ×4, first 2 shown]
	scratch_store_b64 off, v[0:1], off offset:980 ; 8-byte Folded Spill
	v_add_f64 v[0:1], v[92:93], v[6:7]
	v_add_f64 v[92:93], v[96:97], v[6:7]
	;; [unrolled: 1-line block ×3, first 2 shown]
	v_dual_mov_b32 v102, v247 :: v_dual_mov_b32 v247, v113
	v_mov_b32_e32 v113, v115
	v_mul_f64 v[114:115], v[48:49], s[30:31]
	scratch_store_b64 off, v[10:11], off offset:932 ; 8-byte Folded Spill
	v_add_f64 v[10:11], v[84:85], v[6:7]
	scratch_store_b64 off, v[0:1], off offset:972 ; 8-byte Folded Spill
	v_add_f64 v[0:1], v[130:131], v[4:5]
	v_mul_f64 v[130:131], v[100:101], s[46:47]
	scratch_store_b64 off, v[10:11], off offset:444 ; 8-byte Folded Spill
	v_add_f64 v[10:11], v[122:123], v[4:5]
	v_mul_f64 v[122:123], v[42:43], s[40:41]
	scratch_store_b64 off, v[0:1], off offset:964 ; 8-byte Folded Spill
	v_add_f64 v[0:1], v[78:79], v[6:7]
	scratch_store_b64 off, v[0:1], off offset:996 ; 8-byte Folded Spill
	v_add_f64 v[0:1], v[94:95], v[6:7]
	v_add_f64 v[94:95], v[98:99], v[6:7]
	;; [unrolled: 1-line block ×4, first 2 shown]
	v_mul_f64 v[12:13], v[72:73], s[44:45]
	scratch_store_b64 off, v[0:1], off offset:956 ; 8-byte Folded Spill
	v_add_f64 v[0:1], v[132:133], v[4:5]
	v_mul_f64 v[132:133], v[50:51], s[22:23]
	scratch_store_b64 off, v[0:1], off offset:948 ; 8-byte Folded Spill
	v_add_f64 v[0:1], v[136:137], v[4:5]
	v_add_f64 v[4:5], v[14:15], v[4:5]
	v_mul_f64 v[14:15], v[66:67], s[30:31]
	s_clause 0x1
	scratch_store_b64 off, v[10:11], off offset:116
	scratch_store_b64 off, v[6:7], off offset:100
	v_mul_f64 v[10:11], v[100:101], s[44:45]
	v_fma_f64 v[6:7], v[54:55], s[20:21], -v[12:13]
	scratch_store_b64 off, v[4:5], off offset:68 ; 8-byte Folded Spill
	v_fma_f64 v[76:77], v[46:47], s[2:3], v[14:15]
	v_fma_f64 v[4:5], v[52:53], s[20:21], v[10:11]
	v_add_f64 v[6:7], v[124:125], v[6:7]
	v_fma_f64 v[10:11], v[52:53], s[20:21], -v[10:11]
	s_delay_alu instid0(VALU_DEP_3) | instskip(NEXT) | instid1(VALU_DEP_2)
	v_add_f64 v[4:5], v[4:5], v[86:87]
	v_add_f64 v[8:9], v[10:11], v[8:9]
	v_fma_f64 v[10:11], v[54:55], s[20:21], v[12:13]
	v_fma_f64 v[12:13], v[46:47], s[2:3], -v[14:15]
	v_fma_f64 v[14:15], v[142:143], s[14:15], v[162:163]
	v_add_f64 v[4:5], v[76:77], v[4:5]
	v_mul_f64 v[76:77], v[64:65], s[30:31]
	v_add_f64 v[10:11], v[140:141], v[10:11]
	v_add_f64 v[8:9], v[12:13], v[8:9]
	s_delay_alu instid0(VALU_DEP_3) | instskip(SKIP_2) | instid1(VALU_DEP_3)
	v_fma_f64 v[78:79], v[44:45], s[2:3], -v[76:77]
	v_fma_f64 v[12:13], v[44:45], s[2:3], v[76:77]
	v_mul_f64 v[76:77], v[100:101], s[50:51]
	v_add_f64 v[6:7], v[78:79], v[6:7]
	v_mul_f64 v[78:79], v[62:63], s[36:37]
	s_delay_alu instid0(VALU_DEP_4) | instskip(NEXT) | instid1(VALU_DEP_2)
	v_add_f64 v[10:11], v[12:13], v[10:11]
	v_fma_f64 v[80:81], v[38:39], s[18:19], v[78:79]
	v_fma_f64 v[12:13], v[38:39], s[18:19], -v[78:79]
	v_mul_f64 v[78:79], v[72:73], s[50:51]
	s_delay_alu instid0(VALU_DEP_3) | instskip(SKIP_1) | instid1(VALU_DEP_4)
	v_add_f64 v[4:5], v[80:81], v[4:5]
	v_mul_f64 v[80:81], v[60:61], s[36:37]
	v_add_f64 v[8:9], v[12:13], v[8:9]
	s_delay_alu instid0(VALU_DEP_2) | instskip(SKIP_2) | instid1(VALU_DEP_3)
	v_fma_f64 v[82:83], v[36:37], s[18:19], -v[80:81]
	v_fma_f64 v[12:13], v[36:37], s[18:19], v[80:81]
	v_mul_f64 v[80:81], v[66:67], s[40:41]
	v_add_f64 v[6:7], v[82:83], v[6:7]
	v_mul_f64 v[82:83], v[58:59], s[24:25]
	s_delay_alu instid0(VALU_DEP_4) | instskip(NEXT) | instid1(VALU_DEP_2)
	v_add_f64 v[10:11], v[12:13], v[10:11]
	v_fma_f64 v[84:85], v[18:19], s[8:9], v[82:83]
	v_fma_f64 v[12:13], v[18:19], s[8:9], -v[82:83]
	v_fma_f64 v[82:83], v[46:47], s[14:15], v[80:81]
	v_fma_f64 v[80:81], v[46:47], s[14:15], -v[80:81]
	s_delay_alu instid0(VALU_DEP_4) | instskip(SKIP_2) | instid1(VALU_DEP_2)
	v_add_f64 v[4:5], v[84:85], v[4:5]
	v_mul_f64 v[84:85], v[56:57], s[24:25]
	v_add_f64 v[8:9], v[12:13], v[8:9]
	v_fma_f64 v[86:87], v[16:17], s[8:9], -v[84:85]
	v_fma_f64 v[12:13], v[16:17], s[8:9], v[84:85]
	s_delay_alu instid0(VALU_DEP_2) | instskip(SKIP_1) | instid1(VALU_DEP_3)
	v_add_f64 v[6:7], v[86:87], v[6:7]
	v_mul_f64 v[86:87], v[50:51], s[50:51]
	v_add_f64 v[10:11], v[12:13], v[10:11]
	s_delay_alu instid0(VALU_DEP_2) | instskip(SKIP_1) | instid1(VALU_DEP_2)
	v_fma_f64 v[124:125], v[30:31], s[16:17], v[86:87]
	v_fma_f64 v[12:13], v[30:31], s[16:17], -v[86:87]
	v_add_f64 v[4:5], v[124:125], v[4:5]
	v_mul_f64 v[124:125], v[48:49], s[50:51]
	s_delay_alu instid0(VALU_DEP_3) | instskip(NEXT) | instid1(VALU_DEP_2)
	v_add_f64 v[8:9], v[12:13], v[8:9]
	v_fma_f64 v[154:155], v[28:29], s[16:17], -v[124:125]
	v_fma_f64 v[12:13], v[28:29], s[16:17], v[124:125]
	s_delay_alu instid0(VALU_DEP_2) | instskip(SKIP_1) | instid1(VALU_DEP_3)
	v_add_f64 v[6:7], v[154:155], v[6:7]
	v_mul_f64 v[154:155], v[42:43], s[52:53]
	v_add_f64 v[10:11], v[12:13], v[10:11]
	s_delay_alu instid0(VALU_DEP_2) | instskip(SKIP_1) | instid1(VALU_DEP_2)
	v_fma_f64 v[156:157], v[26:27], s[12:13], v[154:155]
	v_fma_f64 v[12:13], v[26:27], s[12:13], -v[154:155]
	v_add_f64 v[4:5], v[156:157], v[4:5]
	v_mul_f64 v[156:157], v[40:41], s[52:53]
	s_delay_alu instid0(VALU_DEP_3) | instskip(NEXT) | instid1(VALU_DEP_2)
	v_add_f64 v[8:9], v[12:13], v[8:9]
	v_fma_f64 v[158:159], v[34:35], s[12:13], -v[156:157]
	v_fma_f64 v[12:13], v[34:35], s[12:13], v[156:157]
	s_delay_alu instid0(VALU_DEP_2) | instskip(SKIP_1) | instid1(VALU_DEP_3)
	v_add_f64 v[158:159], v[158:159], v[6:7]
	v_fma_f64 v[6:7], v[74:75], s[14:15], v[160:161]
	v_add_f64 v[12:13], v[12:13], v[10:11]
	v_fma_f64 v[10:11], v[74:75], s[14:15], -v[160:161]
	v_mul_f64 v[160:161], v[32:33], s[52:53]
	s_delay_alu instid0(VALU_DEP_4) | instskip(SKIP_2) | instid1(VALU_DEP_2)
	v_add_f64 v[6:7], v[6:7], v[4:5]
	v_fma_f64 v[4:5], v[142:143], s[14:15], -v[162:163]
	v_mul_f64 v[162:163], v[148:149], s[52:53]
	v_add_f64 v[4:5], v[4:5], v[158:159]
	scratch_store_b128 off, v[4:7], off offset:52 ; 16-byte Folded Spill
	v_add_f64 v[4:5], v[14:15], v[12:13]
	v_fma_f64 v[12:13], v[52:53], s[16:17], v[76:77]
	v_fma_f64 v[14:15], v[54:55], s[16:17], -v[78:79]
	v_fma_f64 v[76:77], v[52:53], s[16:17], -v[76:77]
	v_fma_f64 v[78:79], v[54:55], s[16:17], v[78:79]
	v_add_f64 v[6:7], v[10:11], v[8:9]
	v_mul_f64 v[8:9], v[62:63], s[44:45]
	v_add_f64 v[12:13], v[12:13], v[88:89]
	v_add_f64 v[14:15], v[126:127], v[14:15]
	;; [unrolled: 1-line block ×4, first 2 shown]
	v_mul_f64 v[104:105], v[60:61], s[30:31]
	v_mul_f64 v[2:3], v[100:101], s[54:55]
	scratch_store_b128 off, v[4:7], off offset:84 ; 16-byte Folded Spill
	v_add_f64 v[12:13], v[82:83], v[12:13]
	v_mul_f64 v[82:83], v[64:65], s[40:41]
	v_add_f64 v[76:77], v[80:81], v[76:77]
	scratch_store_b64 off, v[2:3], off offset:1004 ; 8-byte Folded Spill
	v_fma_f64 v[84:85], v[44:45], s[14:15], -v[82:83]
	v_fma_f64 v[80:81], v[44:45], s[14:15], v[82:83]
	v_fma_f64 v[82:83], v[142:143], s[12:13], v[162:163]
	s_delay_alu instid0(VALU_DEP_3) | instskip(SKIP_1) | instid1(VALU_DEP_4)
	v_add_f64 v[14:15], v[84:85], v[14:15]
	v_mul_f64 v[84:85], v[62:63], s[42:43]
	v_add_f64 v[78:79], v[80:81], v[78:79]
	s_delay_alu instid0(VALU_DEP_2) | instskip(SKIP_3) | instid1(VALU_DEP_4)
	v_fma_f64 v[86:87], v[38:39], s[8:9], v[84:85]
	v_fma_f64 v[80:81], v[38:39], s[8:9], -v[84:85]
	v_fma_f64 v[84:85], v[46:47], s[20:21], v[70:71]
	v_fma_f64 v[70:71], v[46:47], s[20:21], -v[70:71]
	v_add_f64 v[12:13], v[86:87], v[12:13]
	v_mul_f64 v[86:87], v[60:61], s[42:43]
	v_add_f64 v[76:77], v[80:81], v[76:77]
	s_delay_alu instid0(VALU_DEP_2) | instskip(SKIP_1) | instid1(VALU_DEP_2)
	v_fma_f64 v[88:89], v[36:37], s[8:9], -v[86:87]
	v_fma_f64 v[80:81], v[36:37], s[8:9], v[86:87]
	v_add_f64 v[14:15], v[88:89], v[14:15]
	v_mul_f64 v[88:89], v[58:59], s[22:23]
	s_delay_alu instid0(VALU_DEP_3) | instskip(NEXT) | instid1(VALU_DEP_2)
	v_add_f64 v[78:79], v[80:81], v[78:79]
	v_fma_f64 v[124:125], v[18:19], s[20:21], v[88:89]
	v_fma_f64 v[80:81], v[18:19], s[20:21], -v[88:89]
	s_delay_alu instid0(VALU_DEP_2) | instskip(SKIP_1) | instid1(VALU_DEP_3)
	v_add_f64 v[12:13], v[124:125], v[12:13]
	v_mul_f64 v[124:125], v[56:57], s[22:23]
	v_add_f64 v[76:77], v[80:81], v[76:77]
	s_delay_alu instid0(VALU_DEP_2) | instskip(SKIP_1) | instid1(VALU_DEP_2)
	v_fma_f64 v[126:127], v[16:17], s[20:21], -v[124:125]
	v_fma_f64 v[80:81], v[16:17], s[20:21], v[124:125]
	v_add_f64 v[14:15], v[126:127], v[14:15]
	v_mul_f64 v[126:127], v[50:51], s[26:27]
	s_delay_alu instid0(VALU_DEP_3) | instskip(NEXT) | instid1(VALU_DEP_2)
	v_add_f64 v[78:79], v[80:81], v[78:79]
	v_fma_f64 v[140:141], v[30:31], s[0:1], v[126:127]
	v_fma_f64 v[80:81], v[30:31], s[0:1], -v[126:127]
	s_delay_alu instid0(VALU_DEP_2) | instskip(SKIP_1) | instid1(VALU_DEP_3)
	v_add_f64 v[12:13], v[140:141], v[12:13]
	v_mul_f64 v[140:141], v[48:49], s[26:27]
	v_add_f64 v[76:77], v[80:81], v[76:77]
	s_delay_alu instid0(VALU_DEP_2) | instskip(SKIP_2) | instid1(VALU_DEP_3)
	v_fma_f64 v[154:155], v[28:29], s[0:1], -v[140:141]
	v_fma_f64 v[80:81], v[28:29], s[0:1], v[140:141]
	v_mul_f64 v[140:141], v[62:63], s[30:31]
	v_add_f64 v[14:15], v[154:155], v[14:15]
	v_mul_f64 v[154:155], v[42:43], s[36:37]
	s_delay_alu instid0(VALU_DEP_4) | instskip(NEXT) | instid1(VALU_DEP_2)
	v_add_f64 v[78:79], v[80:81], v[78:79]
	v_fma_f64 v[156:157], v[26:27], s[18:19], v[154:155]
	v_fma_f64 v[80:81], v[26:27], s[18:19], -v[154:155]
	v_mul_f64 v[154:155], v[58:59], s[34:35]
	s_delay_alu instid0(VALU_DEP_3) | instskip(SKIP_1) | instid1(VALU_DEP_4)
	v_add_f64 v[12:13], v[156:157], v[12:13]
	v_mul_f64 v[156:157], v[40:41], s[36:37]
	v_add_f64 v[76:77], v[80:81], v[76:77]
	s_delay_alu instid0(VALU_DEP_2) | instskip(SKIP_2) | instid1(VALU_DEP_3)
	v_fma_f64 v[80:81], v[34:35], s[18:19], v[156:157]
	v_fma_f64 v[158:159], v[34:35], s[18:19], -v[156:157]
	v_mul_f64 v[156:157], v[56:57], s[34:35]
	v_add_f64 v[80:81], v[80:81], v[78:79]
	s_delay_alu instid0(VALU_DEP_3)
	v_add_f64 v[158:159], v[158:159], v[14:15]
	v_fma_f64 v[14:15], v[74:75], s[12:13], v[160:161]
	v_fma_f64 v[78:79], v[74:75], s[12:13], -v[160:161]
	v_mul_f64 v[160:161], v[48:49], s[54:55]
	v_add_f64 v[177:178], v[82:83], v[80:81]
	v_fma_f64 v[80:81], v[52:53], s[12:13], v[130:131]
	v_fma_f64 v[82:83], v[54:55], s[12:13], -v[120:121]
	v_add_f64 v[6:7], v[14:15], v[12:13]
	v_fma_f64 v[12:13], v[142:143], s[12:13], -v[162:163]
	v_mul_f64 v[162:163], v[42:43], s[26:27]
	v_add_f64 v[179:180], v[78:79], v[76:77]
	v_mul_f64 v[78:79], v[40:41], s[40:41]
	v_mul_f64 v[76:77], v[148:149], s[30:31]
	v_mul_f64 v[14:15], v[50:51], s[30:31]
	v_add_f64 v[80:81], v[80:81], v[90:91]
	v_add_f64 v[82:83], v[128:129], v[82:83]
	v_mul_f64 v[128:129], v[64:65], s[22:23]
	v_add_f64 v[4:5], v[12:13], v[158:159]
	v_mul_f64 v[158:159], v[50:51], s[54:55]
	v_fma_f64 v[90:91], v[54:55], s[14:15], v[203:204]
	v_mul_f64 v[12:13], v[56:57], s[28:29]
	v_mul_f64 v[64:65], v[64:65], s[36:37]
	;; [unrolled: 1-line block ×3, first 2 shown]
	v_add_f64 v[80:81], v[84:85], v[80:81]
	v_fma_f64 v[84:85], v[44:45], s[20:21], -v[128:129]
	v_add_f64 v[90:91], v[0:1], v[90:91]
	v_mul_f64 v[0:1], v[32:33], s[36:37]
	s_delay_alu instid0(VALU_DEP_3) | instskip(SKIP_1) | instid1(VALU_DEP_3)
	v_add_f64 v[82:83], v[84:85], v[82:83]
	v_fma_f64 v[84:85], v[38:39], s[2:3], v[140:141]
	v_fma_f64 v[10:11], v[74:75], s[18:19], -v[0:1]
	v_fma_f64 v[0:1], v[74:75], s[18:19], v[0:1]
	s_delay_alu instid0(VALU_DEP_3) | instskip(SKIP_1) | instid1(VALU_DEP_1)
	v_add_f64 v[80:81], v[84:85], v[80:81]
	v_fma_f64 v[84:85], v[36:37], s[2:3], -v[104:105]
	v_add_f64 v[82:83], v[84:85], v[82:83]
	v_fma_f64 v[84:85], v[18:19], s[14:15], v[154:155]
	s_delay_alu instid0(VALU_DEP_1) | instskip(SKIP_1) | instid1(VALU_DEP_1)
	v_add_f64 v[80:81], v[84:85], v[80:81]
	v_fma_f64 v[84:85], v[16:17], s[14:15], -v[156:157]
	v_add_f64 v[82:83], v[84:85], v[82:83]
	v_fma_f64 v[84:85], v[30:31], s[18:19], v[158:159]
	s_delay_alu instid0(VALU_DEP_1) | instskip(SKIP_1) | instid1(VALU_DEP_1)
	;; [unrolled: 5-line block ×3, first 2 shown]
	v_add_f64 v[80:81], v[84:85], v[80:81]
	v_fma_f64 v[84:85], v[34:35], s[0:1], -v[167:168]
	v_add_f64 v[84:85], v[84:85], v[82:83]
	v_fma_f64 v[82:83], v[74:75], s[16:17], v[169:170]
	s_delay_alu instid0(VALU_DEP_1) | instskip(SKIP_3) | instid1(VALU_DEP_3)
	v_add_f64 v[183:184], v[82:83], v[80:81]
	v_fma_f64 v[80:81], v[142:143], s[16:17], -v[171:172]
	v_mul_f64 v[82:83], v[56:57], s[36:37]
	v_mul_f64 v[56:57], v[56:57], s[26:27]
	v_add_f64 v[181:182], v[80:81], v[84:85]
	v_fma_f64 v[84:85], v[52:53], s[18:19], -v[2:3]
	v_mul_f64 v[2:3], v[72:73], s[54:55]
	scratch_store_b128 off, v[4:7], off offset:452 ; 16-byte Folded Spill
	v_mul_f64 v[80:81], v[48:49], s[22:23]
	v_mul_f64 v[4:5], v[42:43], s[42:43]
	;; [unrolled: 1-line block ×3, first 2 shown]
	v_add_f64 v[84:85], v[84:85], v[96:97]
	scratch_store_b64 off, v[2:3], off offset:1012 ; 8-byte Folded Spill
	v_fma_f64 v[86:87], v[54:55], s[18:19], v[2:3]
	v_mul_f64 v[2:3], v[66:67], s[28:29]
	s_delay_alu instid0(VALU_DEP_2) | instskip(NEXT) | instid1(VALU_DEP_2)
	v_add_f64 v[86:87], v[98:99], v[86:87]
	v_fma_f64 v[88:89], v[46:47], s[16:17], -v[2:3]
	scratch_store_b64 off, v[2:3], off offset:1020 ; 8-byte Folded Spill
	v_mul_f64 v[2:3], v[62:63], s[40:41]
	v_add_f64 v[84:85], v[88:89], v[84:85]
	v_fma_f64 v[88:89], v[44:45], s[16:17], v[150:151]
	scratch_store_b64 off, v[2:3], off offset:1028 ; 8-byte Folded Spill
	v_add_f64 v[86:87], v[88:89], v[86:87]
	v_fma_f64 v[88:89], v[38:39], s[14:15], -v[2:3]
	v_mul_f64 v[2:3], v[60:61], s[40:41]
	s_delay_alu instid0(VALU_DEP_2) | instskip(NEXT) | instid1(VALU_DEP_2)
	v_add_f64 v[84:85], v[88:89], v[84:85]
	v_fma_f64 v[88:89], v[36:37], s[14:15], v[2:3]
	scratch_store_b64 off, v[2:3], off offset:1036 ; 8-byte Folded Spill
	v_mul_f64 v[2:3], v[40:41], s[42:43]
	v_add_f64 v[86:87], v[88:89], v[86:87]
	v_fma_f64 v[88:89], v[18:19], s[12:13], -v[185:186]
	s_delay_alu instid0(VALU_DEP_3) | instskip(SKIP_1) | instid1(VALU_DEP_3)
	v_fma_f64 v[6:7], v[34:35], s[8:9], v[2:3]
	v_fma_f64 v[2:3], v[34:35], s[8:9], -v[2:3]
	v_add_f64 v[84:85], v[88:89], v[84:85]
	v_fma_f64 v[88:89], v[16:17], s[12:13], v[187:188]
	s_delay_alu instid0(VALU_DEP_1) | instskip(SKIP_1) | instid1(VALU_DEP_1)
	v_add_f64 v[86:87], v[88:89], v[86:87]
	v_fma_f64 v[88:89], v[30:31], s[8:9], -v[189:190]
	v_add_f64 v[84:85], v[88:89], v[84:85]
	v_fma_f64 v[88:89], v[28:29], s[8:9], v[191:192]
	s_delay_alu instid0(VALU_DEP_1) | instskip(SKIP_1) | instid1(VALU_DEP_1)
	v_add_f64 v[86:87], v[88:89], v[86:87]
	;; [unrolled: 5-line block ×3, first 2 shown]
	v_fma_f64 v[86:87], v[74:75], s[0:1], -v[197:198]
	v_add_f64 v[175:176], v[86:87], v[84:85]
	v_fma_f64 v[84:85], v[142:143], s[0:1], v[199:200]
	v_mul_f64 v[86:87], v[32:33], s[30:31]
	s_delay_alu instid0(VALU_DEP_2) | instskip(SKIP_3) | instid1(VALU_DEP_3)
	v_add_f64 v[173:174], v[84:85], v[88:89]
	v_fma_f64 v[88:89], v[52:53], s[14:15], -v[201:202]
	v_mul_f64 v[84:85], v[58:59], s[36:37]
	v_mul_f64 v[58:59], v[58:59], s[26:27]
	v_add_f64 v[88:89], v[88:89], v[94:95]
	v_fma_f64 v[94:95], v[46:47], s[8:9], -v[146:147]
	s_delay_alu instid0(VALU_DEP_1) | instskip(SKIP_1) | instid1(VALU_DEP_1)
	v_add_f64 v[88:89], v[94:95], v[88:89]
	v_fma_f64 v[94:95], v[44:45], s[8:9], v[205:206]
	v_add_f64 v[90:91], v[94:95], v[90:91]
	v_fma_f64 v[94:95], v[38:39], s[0:1], -v[207:208]
	s_delay_alu instid0(VALU_DEP_1) | instskip(SKIP_1) | instid1(VALU_DEP_1)
	v_add_f64 v[88:89], v[94:95], v[88:89]
	v_fma_f64 v[94:95], v[36:37], s[0:1], v[209:210]
	;; [unrolled: 5-line block ×5, first 2 shown]
	v_add_f64 v[94:95], v[94:95], v[90:91]
	v_fma_f64 v[90:91], v[74:75], s[20:21], -v[165:166]
	s_delay_alu instid0(VALU_DEP_1) | instskip(SKIP_3) | instid1(VALU_DEP_3)
	v_add_f64 v[138:139], v[90:91], v[88:89]
	v_fma_f64 v[88:89], v[142:143], s[20:21], v[144:145]
	v_mul_f64 v[90:91], v[62:63], s[46:47]
	v_mul_f64 v[62:63], v[62:63], s[28:29]
	v_add_f64 v[136:137], v[88:89], v[94:95]
	v_fma_f64 v[94:95], v[52:53], s[8:9], -v[215:216]
	v_mul_f64 v[88:89], v[60:61], s[46:47]
	v_mul_f64 v[60:61], v[60:61], s[28:29]
	s_delay_alu instid0(VALU_DEP_3) | instskip(SKIP_1) | instid1(VALU_DEP_1)
	v_add_f64 v[92:93], v[94:95], v[92:93]
	v_fma_f64 v[94:95], v[54:55], s[8:9], v[218:219]
	v_add_f64 v[94:95], v[134:135], v[94:95]
	v_mul_f64 v[134:135], v[66:67], s[48:49]
	s_delay_alu instid0(VALU_DEP_1) | instskip(NEXT) | instid1(VALU_DEP_1)
	v_fma_f64 v[96:97], v[46:47], s[0:1], -v[134:135]
	v_add_f64 v[92:93], v[96:97], v[92:93]
	v_fma_f64 v[96:97], v[44:45], s[0:1], v[220:221]
	s_delay_alu instid0(VALU_DEP_1) | instskip(SKIP_1) | instid1(VALU_DEP_1)
	v_add_f64 v[94:95], v[96:97], v[94:95]
	v_fma_f64 v[96:97], v[38:39], s[12:13], -v[90:91]
	v_add_f64 v[92:93], v[96:97], v[92:93]
	v_fma_f64 v[96:97], v[36:37], s[12:13], v[88:89]
	s_delay_alu instid0(VALU_DEP_1) | instskip(SKIP_1) | instid1(VALU_DEP_1)
	v_add_f64 v[94:95], v[96:97], v[94:95]
	;; [unrolled: 5-line block ×5, first 2 shown]
	v_fma_f64 v[94:95], v[74:75], s[2:3], -v[86:87]
	v_add_f64 v[126:127], v[94:95], v[92:93]
	v_fma_f64 v[92:93], v[142:143], s[2:3], v[76:77]
	s_delay_alu instid0(VALU_DEP_1)
	v_add_f64 v[124:125], v[92:93], v[96:97]
	v_fma_f64 v[96:97], v[52:53], s[0:1], -v[24:25]
	scratch_load_b64 v[92:93], off, off offset:996 ; 8-byte Folded Reload
	v_add_f64 v[96:97], v[96:97], v[152:153]
	v_mul_f64 v[152:153], v[72:73], s[26:27]
	v_mul_f64 v[72:73], v[72:73], s[38:39]
	s_delay_alu instid0(VALU_DEP_2) | instskip(NEXT) | instid1(VALU_DEP_1)
	v_fma_f64 v[98:99], v[54:55], s[0:1], v[152:153]
	v_add_f64 v[98:99], v[118:119], v[98:99]
	v_mul_f64 v[118:119], v[66:67], s[46:47]
	v_mul_f64 v[66:67], v[66:67], s[36:37]
	s_delay_alu instid0(VALU_DEP_2) | instskip(NEXT) | instid1(VALU_DEP_1)
	v_fma_f64 v[68:69], v[46:47], s[12:13], -v[118:119]
	v_add_f64 v[68:69], v[68:69], v[96:97]
	v_fma_f64 v[96:97], v[44:45], s[12:13], v[22:23]
	s_delay_alu instid0(VALU_DEP_1) | instskip(SKIP_1) | instid1(VALU_DEP_1)
	v_add_f64 v[96:97], v[96:97], v[98:99]
	v_fma_f64 v[98:99], v[38:39], s[20:21], -v[8:9]
	v_add_f64 v[68:69], v[98:99], v[68:69]
	v_fma_f64 v[98:99], v[36:37], s[20:21], v[20:21]
	s_delay_alu instid0(VALU_DEP_1) | instskip(SKIP_1) | instid1(VALU_DEP_1)
	v_add_f64 v[96:97], v[98:99], v[96:97]
	;; [unrolled: 5-line block ×3, first 2 shown]
	v_fma_f64 v[98:99], v[30:31], s[2:3], -v[14:15]
	v_add_f64 v[68:69], v[98:99], v[68:69]
	v_fma_f64 v[98:99], v[28:29], s[2:3], v[114:115]
	s_delay_alu instid0(VALU_DEP_1) | instskip(SKIP_2) | instid1(VALU_DEP_3)
	v_add_f64 v[96:97], v[98:99], v[96:97]
	v_fma_f64 v[98:99], v[26:27], s[8:9], -v[4:5]
	v_fma_f64 v[4:5], v[26:27], s[8:9], v[4:5]
	v_add_f64 v[6:7], v[6:7], v[96:97]
	s_delay_alu instid0(VALU_DEP_3) | instskip(NEXT) | instid1(VALU_DEP_1)
	v_add_f64 v[68:69], v[98:99], v[68:69]
	v_add_f64 v[98:99], v[10:11], v[68:69]
	v_mul_f64 v[10:11], v[148:149], s[36:37]
	v_mul_f64 v[148:149], v[148:149], s[24:25]
	s_delay_alu instid0(VALU_DEP_2) | instskip(NEXT) | instid1(VALU_DEP_1)
	v_fma_f64 v[68:69], v[142:143], s[18:19], v[10:11]
	v_add_f64 v[96:97], v[68:69], v[6:7]
	v_mul_f64 v[6:7], v[100:101], s[38:39]
	v_fma_f64 v[100:101], v[54:55], s[2:3], v[72:73]
	s_delay_alu instid0(VALU_DEP_2) | instskip(NEXT) | instid1(VALU_DEP_2)
	v_fma_f64 v[68:69], v[52:53], s[2:3], -v[6:7]
	v_add_f64 v[100:101], v[116:117], v[100:101]
	v_fma_f64 v[116:117], v[46:47], s[18:19], -v[66:67]
	v_fma_f64 v[6:7], v[52:53], s[2:3], v[6:7]
	v_fma_f64 v[66:67], v[46:47], s[18:19], v[66:67]
	s_waitcnt vmcnt(0)
	v_add_f64 v[68:69], v[68:69], v[92:93]
	s_delay_alu instid0(VALU_DEP_1) | instskip(SKIP_2) | instid1(VALU_DEP_2)
	v_add_f64 v[68:69], v[116:117], v[68:69]
	v_fma_f64 v[116:117], v[44:45], s[18:19], v[64:65]
	v_fma_f64 v[64:65], v[44:45], s[18:19], -v[64:65]
	v_add_f64 v[100:101], v[116:117], v[100:101]
	v_fma_f64 v[116:117], v[38:39], s[16:17], -v[62:63]
	v_fma_f64 v[62:63], v[38:39], s[16:17], v[62:63]
	s_delay_alu instid0(VALU_DEP_2) | instskip(SKIP_2) | instid1(VALU_DEP_2)
	v_add_f64 v[68:69], v[116:117], v[68:69]
	v_fma_f64 v[116:117], v[36:37], s[16:17], v[60:61]
	v_fma_f64 v[60:61], v[36:37], s[16:17], -v[60:61]
	v_add_f64 v[100:101], v[116:117], v[100:101]
	v_fma_f64 v[116:117], v[18:19], s[0:1], -v[58:59]
	v_fma_f64 v[58:59], v[18:19], s[0:1], v[58:59]
	s_delay_alu instid0(VALU_DEP_2) | instskip(SKIP_2) | instid1(VALU_DEP_2)
	;; [unrolled: 7-line block ×3, first 2 shown]
	v_add_f64 v[68:69], v[116:117], v[68:69]
	v_fma_f64 v[116:117], v[28:29], s[14:15], v[48:49]
	v_fma_f64 v[48:49], v[28:29], s[14:15], -v[48:49]
	v_add_f64 v[100:101], v[116:117], v[100:101]
	v_mul_f64 v[116:117], v[42:43], s[22:23]
	s_delay_alu instid0(VALU_DEP_1) | instskip(NEXT) | instid1(VALU_DEP_1)
	v_fma_f64 v[42:43], v[26:27], s[20:21], -v[116:117]
	v_add_f64 v[42:43], v[42:43], v[68:69]
	v_mul_f64 v[68:69], v[40:41], s[22:23]
	s_delay_alu instid0(VALU_DEP_1) | instskip(NEXT) | instid1(VALU_DEP_1)
	v_fma_f64 v[40:41], v[34:35], s[20:21], v[68:69]
	v_add_f64 v[40:41], v[40:41], v[100:101]
	v_mul_f64 v[100:101], v[32:33], s[24:25]
	s_delay_alu instid0(VALU_DEP_1) | instskip(NEXT) | instid1(VALU_DEP_1)
	v_fma_f64 v[32:33], v[74:75], s[8:9], -v[100:101]
	v_add_f64 v[94:95], v[32:33], v[42:43]
	v_fma_f64 v[32:33], v[142:143], s[8:9], v[148:149]
	v_fma_f64 v[42:43], v[54:55], s[12:13], v[120:121]
	s_delay_alu instid0(VALU_DEP_2) | instskip(SKIP_3) | instid1(VALU_DEP_1)
	v_add_f64 v[92:93], v[32:33], v[40:41]
	scratch_load_b64 v[32:33], off, off offset:988 ; 8-byte Folded Reload
	v_fma_f64 v[40:41], v[52:53], s[12:13], -v[130:131]
	s_waitcnt vmcnt(0)
	v_add_f64 v[40:41], v[40:41], v[32:33]
	scratch_load_b64 v[32:33], off, off offset:980 ; 8-byte Folded Reload
	v_add_f64 v[40:41], v[70:71], v[40:41]
	v_fma_f64 v[70:71], v[44:45], s[20:21], v[128:129]
	s_waitcnt vmcnt(0)
	v_add_f64 v[42:43], v[32:33], v[42:43]
	s_delay_alu instid0(VALU_DEP_1) | instskip(SKIP_1) | instid1(VALU_DEP_1)
	v_add_f64 v[42:43], v[70:71], v[42:43]
	v_fma_f64 v[70:71], v[38:39], s[2:3], -v[140:141]
	v_add_f64 v[40:41], v[70:71], v[40:41]
	v_fma_f64 v[70:71], v[36:37], s[2:3], v[104:105]
	v_fma_f64 v[104:105], v[142:143], s[16:17], v[171:172]
	s_delay_alu instid0(VALU_DEP_2) | instskip(SKIP_1) | instid1(VALU_DEP_1)
	v_add_f64 v[42:43], v[70:71], v[42:43]
	v_fma_f64 v[70:71], v[18:19], s[14:15], -v[154:155]
	v_add_f64 v[40:41], v[70:71], v[40:41]
	v_fma_f64 v[70:71], v[16:17], s[14:15], v[156:157]
	s_delay_alu instid0(VALU_DEP_1) | instskip(SKIP_1) | instid1(VALU_DEP_1)
	v_add_f64 v[42:43], v[70:71], v[42:43]
	v_fma_f64 v[70:71], v[30:31], s[18:19], -v[158:159]
	v_add_f64 v[40:41], v[70:71], v[40:41]
	v_fma_f64 v[70:71], v[28:29], s[18:19], v[160:161]
	s_delay_alu instid0(VALU_DEP_1) | instskip(SKIP_1) | instid1(VALU_DEP_1)
	;; [unrolled: 5-line block ×3, first 2 shown]
	v_add_f64 v[70:71], v[70:71], v[42:43]
	v_fma_f64 v[42:43], v[74:75], s[16:17], -v[169:170]
	v_add_f64 v[42:43], v[42:43], v[40:41]
	s_delay_alu instid0(VALU_DEP_3)
	v_add_f64 v[40:41], v[104:105], v[70:71]
	s_clause 0x2
	scratch_load_b32 v105, off, off offset:20
	scratch_load_b32 v104, off, off offset:4
	scratch_load_b64 v[32:33], off, off offset:972
	v_fma_f64 v[70:71], v[54:55], s[2:3], -v[72:73]
	s_waitcnt vmcnt(0)
	v_add_f64 v[6:7], v[6:7], v[32:33]
	scratch_load_b64 v[32:33], off, off offset:964 ; 8-byte Folded Reload
	v_add_f64 v[6:7], v[66:67], v[6:7]
	s_delay_alu instid0(VALU_DEP_1) | instskip(NEXT) | instid1(VALU_DEP_1)
	v_add_f64 v[6:7], v[62:63], v[6:7]
	v_add_f64 v[6:7], v[58:59], v[6:7]
	v_fma_f64 v[58:59], v[44:45], s[12:13], -v[22:23]
	s_delay_alu instid0(VALU_DEP_2) | instskip(SKIP_1) | instid1(VALU_DEP_1)
	v_add_f64 v[6:7], v[50:51], v[6:7]
	v_fma_f64 v[50:51], v[26:27], s[20:21], v[116:117]
	v_add_f64 v[6:7], v[50:51], v[6:7]
	v_fma_f64 v[50:51], v[34:35], s[20:21], -v[68:69]
	s_waitcnt vmcnt(0)
	v_add_f64 v[70:71], v[32:33], v[70:71]
	s_delay_alu instid0(VALU_DEP_1) | instskip(NEXT) | instid1(VALU_DEP_1)
	v_add_f64 v[64:65], v[64:65], v[70:71]
	v_add_f64 v[60:61], v[60:61], v[64:65]
	s_delay_alu instid0(VALU_DEP_1) | instskip(NEXT) | instid1(VALU_DEP_1)
	v_add_f64 v[56:57], v[56:57], v[60:61]
	v_add_f64 v[48:49], v[48:49], v[56:57]
	v_fma_f64 v[56:57], v[142:143], s[8:9], -v[148:149]
	s_delay_alu instid0(VALU_DEP_2) | instskip(SKIP_1) | instid1(VALU_DEP_2)
	v_add_f64 v[48:49], v[50:51], v[48:49]
	v_fma_f64 v[50:51], v[74:75], s[8:9], v[100:101]
	v_add_f64 v[48:49], v[56:57], v[48:49]
	s_delay_alu instid0(VALU_DEP_2)
	v_add_f64 v[50:51], v[50:51], v[6:7]
	v_fma_f64 v[6:7], v[52:53], s[0:1], v[24:25]
	scratch_load_b64 v[24:25], off, off offset:956 ; 8-byte Folded Reload
	v_fma_f64 v[56:57], v[46:47], s[12:13], v[118:119]
	s_waitcnt vmcnt(0)
	v_add_f64 v[6:7], v[6:7], v[24:25]
	s_delay_alu instid0(VALU_DEP_1)
	v_add_f64 v[6:7], v[56:57], v[6:7]
	v_fma_f64 v[56:57], v[38:39], s[20:21], v[8:9]
	scratch_load_b64 v[8:9], off, off offset:948 ; 8-byte Folded Reload
	v_add_f64 v[6:7], v[56:57], v[6:7]
	v_fma_f64 v[56:57], v[18:19], s[16:17], v[107:108]
	scratch_load_b32 v108, off, off         ; 4-byte Folded Reload
	v_add_f64 v[6:7], v[56:57], v[6:7]
	v_fma_f64 v[56:57], v[30:31], s[2:3], v[14:15]
	s_delay_alu instid0(VALU_DEP_1) | instskip(SKIP_1) | instid1(VALU_DEP_2)
	v_add_f64 v[6:7], v[56:57], v[6:7]
	v_fma_f64 v[56:57], v[54:55], s[0:1], -v[152:153]
	v_add_f64 v[4:5], v[4:5], v[6:7]
	v_fma_f64 v[6:7], v[142:143], s[18:19], -v[10:11]
	s_waitcnt vmcnt(1)
	s_delay_alu instid0(VALU_DEP_3) | instskip(SKIP_1) | instid1(VALU_DEP_2)
	v_add_f64 v[56:57], v[8:9], v[56:57]
	v_fma_f64 v[8:9], v[36:37], s[20:21], -v[20:21]
	v_add_f64 v[56:57], v[58:59], v[56:57]
	v_add_f64 v[58:59], v[0:1], v[4:5]
	v_fma_f64 v[0:1], v[52:53], s[8:9], v[215:216]
	scratch_load_b64 v[4:5], off, off offset:932 ; 8-byte Folded Reload
	v_add_f64 v[8:9], v[8:9], v[56:57]
	v_fma_f64 v[56:57], v[16:17], s[16:17], -v[12:13]
	s_delay_alu instid0(VALU_DEP_1) | instskip(SKIP_4) | instid1(VALU_DEP_4)
	v_add_f64 v[8:9], v[56:57], v[8:9]
	v_fma_f64 v[56:57], v[28:29], s[2:3], -v[114:115]
	v_dual_mov_b32 v115, v113 :: v_dual_mov_b32 v114, v222
	v_mov_b32_e32 v113, v247
	v_mov_b32_e32 v247, v102
	v_add_f64 v[8:9], v[56:57], v[8:9]
	s_delay_alu instid0(VALU_DEP_1)
	v_add_f64 v[2:3], v[2:3], v[8:9]
	scratch_load_b64 v[8:9], off, off offset:68 ; 8-byte Folded Reload
	v_add_f64 v[56:57], v[6:7], v[2:3]
	scratch_load_b64 v[2:3], off, off offset:940 ; 8-byte Folded Reload
	v_fma_f64 v[6:7], v[142:143], s[2:3], -v[76:77]
	s_waitcnt vmcnt(0)
	v_add_f64 v[0:1], v[0:1], v[2:3]
	v_fma_f64 v[2:3], v[54:55], s[8:9], -v[218:219]
	s_delay_alu instid0(VALU_DEP_1) | instskip(SKIP_1) | instid1(VALU_DEP_1)
	v_add_f64 v[2:3], v[4:5], v[2:3]
	v_fma_f64 v[4:5], v[46:47], s[0:1], v[134:135]
	v_add_f64 v[0:1], v[4:5], v[0:1]
	v_fma_f64 v[4:5], v[44:45], s[0:1], -v[220:221]
	s_delay_alu instid0(VALU_DEP_1) | instskip(SKIP_1) | instid1(VALU_DEP_1)
	v_add_f64 v[2:3], v[4:5], v[2:3]
	v_fma_f64 v[4:5], v[38:39], s[12:13], v[90:91]
	;; [unrolled: 5-line block ×5, first 2 shown]
	v_add_f64 v[0:1], v[4:5], v[0:1]
	v_fma_f64 v[4:5], v[34:35], s[14:15], -v[78:79]
	s_delay_alu instid0(VALU_DEP_1) | instskip(SKIP_1) | instid1(VALU_DEP_2)
	v_add_f64 v[2:3], v[4:5], v[2:3]
	v_fma_f64 v[4:5], v[74:75], s[2:3], v[86:87]
	v_add_f64 v[60:61], v[6:7], v[2:3]
	scratch_load_b64 v[2:3], off, off offset:444 ; 8-byte Folded Reload
	v_add_f64 v[62:63], v[4:5], v[0:1]
	scratch_load_b64 v[4:5], off, off offset:116 ; 8-byte Folded Reload
	v_fma_f64 v[0:1], v[52:53], s[14:15], v[201:202]
	v_fma_f64 v[6:7], v[142:143], s[20:21], -v[144:145]
	s_waitcnt vmcnt(1)
	s_delay_alu instid0(VALU_DEP_2) | instskip(SKIP_2) | instid1(VALU_DEP_1)
	v_add_f64 v[0:1], v[0:1], v[2:3]
	v_fma_f64 v[2:3], v[54:55], s[14:15], -v[203:204]
	s_waitcnt vmcnt(0)
	v_add_f64 v[2:3], v[4:5], v[2:3]
	v_fma_f64 v[4:5], v[46:47], s[8:9], v[146:147]
	s_delay_alu instid0(VALU_DEP_1) | instskip(SKIP_1) | instid1(VALU_DEP_1)
	v_add_f64 v[0:1], v[4:5], v[0:1]
	v_fma_f64 v[4:5], v[44:45], s[8:9], -v[205:206]
	v_add_f64 v[2:3], v[4:5], v[2:3]
	v_fma_f64 v[4:5], v[38:39], s[0:1], v[207:208]
	s_delay_alu instid0(VALU_DEP_1) | instskip(SKIP_1) | instid1(VALU_DEP_1)
	v_add_f64 v[0:1], v[4:5], v[0:1]
	v_fma_f64 v[4:5], v[36:37], s[0:1], -v[209:210]
	;; [unrolled: 5-line block ×5, first 2 shown]
	v_add_f64 v[2:3], v[4:5], v[2:3]
	v_fma_f64 v[4:5], v[74:75], s[20:21], v[165:166]
	s_delay_alu instid0(VALU_DEP_2) | instskip(NEXT) | instid1(VALU_DEP_2)
	v_add_f64 v[64:65], v[6:7], v[2:3]
	v_add_f64 v[66:67], v[4:5], v[0:1]
	s_clause 0x3
	scratch_load_b64 v[0:1], off, off offset:1004
	scratch_load_b64 v[2:3], off, off offset:1012
	;; [unrolled: 1-line block ×4, first 2 shown]
	s_waitcnt vmcnt(3)
	v_fma_f64 v[0:1], v[52:53], s[18:19], v[0:1]
	s_waitcnt vmcnt(2)
	v_fma_f64 v[2:3], v[54:55], s[18:19], -v[2:3]
	s_waitcnt vmcnt(0)
	s_delay_alu instid0(VALU_DEP_2) | instskip(NEXT) | instid1(VALU_DEP_2)
	v_add_f64 v[0:1], v[0:1], v[6:7]
	v_add_f64 v[2:3], v[8:9], v[2:3]
	scratch_load_b64 v[8:9], off, off offset:1028 ; 8-byte Folded Reload
	v_fma_f64 v[4:5], v[46:47], s[16:17], v[4:5]
	v_fma_f64 v[6:7], v[44:45], s[16:17], -v[150:151]
	s_delay_alu instid0(VALU_DEP_2)
	v_add_f64 v[0:1], v[4:5], v[0:1]
	scratch_load_b64 v[4:5], off, off offset:1036 ; 8-byte Folded Reload
	v_add_f64 v[2:3], v[6:7], v[2:3]
	v_fma_f64 v[6:7], v[18:19], s[12:13], v[185:186]
	s_waitcnt vmcnt(1)
	v_fma_f64 v[8:9], v[38:39], s[14:15], v[8:9]
	s_delay_alu instid0(VALU_DEP_1) | instskip(SKIP_3) | instid1(VALU_DEP_3)
	v_add_f64 v[0:1], v[8:9], v[0:1]
	v_fma_f64 v[8:9], v[16:17], s[12:13], -v[187:188]
	s_waitcnt vmcnt(0)
	v_fma_f64 v[4:5], v[36:37], s[14:15], -v[4:5]
	v_add_f64 v[0:1], v[6:7], v[0:1]
	v_fma_f64 v[6:7], v[28:29], s[8:9], -v[191:192]
	s_delay_alu instid0(VALU_DEP_3) | instskip(SKIP_1) | instid1(VALU_DEP_2)
	v_add_f64 v[2:3], v[4:5], v[2:3]
	v_fma_f64 v[4:5], v[30:31], s[8:9], v[189:190]
	v_add_f64 v[2:3], v[8:9], v[2:3]
	v_fma_f64 v[8:9], v[26:27], s[2:3], v[193:194]
	s_delay_alu instid0(VALU_DEP_3) | instskip(SKIP_1) | instid1(VALU_DEP_4)
	v_add_f64 v[0:1], v[4:5], v[0:1]
	v_fma_f64 v[4:5], v[34:35], s[2:3], -v[195:196]
	v_add_f64 v[2:3], v[6:7], v[2:3]
	v_fma_f64 v[6:7], v[74:75], s[0:1], v[197:198]
	s_delay_alu instid0(VALU_DEP_4) | instskip(SKIP_1) | instid1(VALU_DEP_4)
	v_add_f64 v[0:1], v[8:9], v[0:1]
	v_fma_f64 v[8:9], v[142:143], s[0:1], -v[199:200]
	v_add_f64 v[2:3], v[4:5], v[2:3]
	s_delay_alu instid0(VALU_DEP_3) | instskip(SKIP_1) | instid1(VALU_DEP_3)
	v_add_f64 v[18:19], v[6:7], v[0:1]
	v_lshl_add_u32 v0, v106, 4, v217
	v_add_f64 v[16:17], v[8:9], v[2:3]
	scratch_load_b128 v[1:4], off, off offset:36 ; 16-byte Folded Reload
	s_waitcnt vmcnt(0)
	ds_store_b128 v0, v[1:4]
	ds_store_b128 v0, v[173:176] offset:16
	ds_store_b128 v0, v[136:139] offset:32
	;; [unrolled: 1-line block ×7, first 2 shown]
	scratch_load_b128 v[1:4], off, off offset:84 ; 16-byte Folded Reload
	s_waitcnt vmcnt(0)
	ds_store_b128 v0, v[1:4] offset:128
	scratch_load_b128 v[1:4], off, off offset:52 ; 16-byte Folded Reload
	s_waitcnt vmcnt(0)
	ds_store_b128 v0, v[1:4] offset:144
	;; [unrolled: 3-line block ×3, first 2 shown]
	ds_store_b128 v0, v[181:184] offset:176
	ds_store_b128 v0, v[48:51] offset:192
	;; [unrolled: 1-line block ×6, first 2 shown]
.LBB0_13:
	s_or_b32 exec_lo, exec_lo, s33
	s_waitcnt lgkmcnt(0)
	s_waitcnt_vscnt null, 0x0
	s_barrier
	buffer_gl0_inv
	ds_load_b128 v[0:3], v164 offset:2176
	scratch_load_b128 v[24:27], off, off offset:500 ; 16-byte Folded Reload
	s_mov_b32 s0, 0xe8584caa
	s_mov_b32 s1, 0xbfebb67a
	;; [unrolled: 1-line block ×4, first 2 shown]
	s_mul_i32 s8, s4, 0x300
	s_waitcnt lgkmcnt(0)
	v_mul_f64 v[4:5], v[225:226], v[2:3]
	s_delay_alu instid0(VALU_DEP_1) | instskip(SKIP_1) | instid1(VALU_DEP_1)
	v_fma_f64 v[4:5], v[223:224], v[0:1], v[4:5]
	v_mul_f64 v[0:1], v[225:226], v[0:1]
	v_fma_f64 v[6:7], v[223:224], v[2:3], -v[0:1]
	ds_load_b128 v[0:3], v164 offset:2448
	s_waitcnt lgkmcnt(0)
	v_mul_f64 v[8:9], v[225:226], v[2:3]
	s_delay_alu instid0(VALU_DEP_1) | instskip(SKIP_1) | instid1(VALU_DEP_1)
	v_fma_f64 v[16:17], v[223:224], v[0:1], v[8:9]
	v_mul_f64 v[0:1], v[225:226], v[0:1]
	v_fma_f64 v[18:19], v[223:224], v[2:3], -v[0:1]
	ds_load_b128 v[0:3], v164 offset:4352
	;; [unrolled: 7-line block ×3, first 2 shown]
	s_waitcnt lgkmcnt(0)
	v_mul_f64 v[12:13], v[111:112], v[2:3]
	v_add_f64 v[14:15], v[6:7], v[10:11]
	s_delay_alu instid0(VALU_DEP_2) | instskip(SKIP_1) | instid1(VALU_DEP_1)
	v_fma_f64 v[20:21], v[109:110], v[0:1], v[12:13]
	v_mul_f64 v[0:1], v[111:112], v[0:1]
	v_fma_f64 v[22:23], v[109:110], v[2:3], -v[0:1]
	ds_load_b128 v[0:3], v164 offset:2720
	s_waitcnt lgkmcnt(0)
	v_mul_f64 v[12:13], v[237:238], v[2:3]
	s_delay_alu instid0(VALU_DEP_1) | instskip(SKIP_1) | instid1(VALU_DEP_1)
	v_fma_f64 v[28:29], v[235:236], v[0:1], v[12:13]
	v_mul_f64 v[0:1], v[237:238], v[0:1]
	v_fma_f64 v[30:31], v[235:236], v[2:3], -v[0:1]
	ds_load_b128 v[0:3], v164 offset:4896
	s_waitcnt lgkmcnt(0)
	v_mul_f64 v[12:13], v[229:230], v[2:3]
	s_delay_alu instid0(VALU_DEP_1) | instskip(SKIP_1) | instid1(VALU_DEP_2)
	v_fma_f64 v[32:33], v[227:228], v[0:1], v[12:13]
	v_mul_f64 v[0:1], v[229:230], v[0:1]
	v_add_f64 v[36:37], v[28:29], v[32:33]
	s_delay_alu instid0(VALU_DEP_2) | instskip(SKIP_4) | instid1(VALU_DEP_2)
	v_fma_f64 v[34:35], v[227:228], v[2:3], -v[0:1]
	ds_load_b128 v[0:3], v164 offset:2992
	s_waitcnt lgkmcnt(0)
	v_mul_f64 v[12:13], v[233:234], v[2:3]
	v_add_f64 v[38:39], v[30:31], v[34:35]
	v_fma_f64 v[56:57], v[231:232], v[0:1], v[12:13]
	v_mul_f64 v[0:1], v[233:234], v[0:1]
	s_delay_alu instid0(VALU_DEP_1) | instskip(SKIP_3) | instid1(VALU_DEP_1)
	v_fma_f64 v[58:59], v[231:232], v[2:3], -v[0:1]
	ds_load_b128 v[0:3], v164 offset:5168
	s_waitcnt lgkmcnt(0)
	v_mul_f64 v[12:13], v[245:246], v[2:3]
	v_fma_f64 v[60:61], v[243:244], v[0:1], v[12:13]
	v_mul_f64 v[0:1], v[245:246], v[0:1]
	s_delay_alu instid0(VALU_DEP_1) | instskip(SKIP_3) | instid1(VALU_DEP_1)
	v_fma_f64 v[62:63], v[243:244], v[2:3], -v[0:1]
	ds_load_b128 v[0:3], v164 offset:3264
	s_waitcnt vmcnt(0) lgkmcnt(0)
	v_mul_f64 v[12:13], v[26:27], v[2:3]
	v_fma_f64 v[64:65], v[24:25], v[0:1], v[12:13]
	v_mul_f64 v[0:1], v[26:27], v[0:1]
	s_delay_alu instid0(VALU_DEP_1) | instskip(SKIP_4) | instid1(VALU_DEP_1)
	v_fma_f64 v[66:67], v[24:25], v[2:3], -v[0:1]
	scratch_load_b128 v[24:27], off, off offset:468 ; 16-byte Folded Reload
	ds_load_b128 v[0:3], v164 offset:5440
	s_waitcnt vmcnt(0) lgkmcnt(0)
	v_mul_f64 v[12:13], v[26:27], v[2:3]
	v_fma_f64 v[68:69], v[24:25], v[0:1], v[12:13]
	v_mul_f64 v[0:1], v[26:27], v[0:1]
	s_delay_alu instid0(VALU_DEP_1) | instskip(SKIP_4) | instid1(VALU_DEP_1)
	v_fma_f64 v[70:71], v[24:25], v[2:3], -v[0:1]
	scratch_load_b128 v[24:27], off, off offset:516 ; 16-byte Folded Reload
	;; [unrolled: 8-line block ×6, first 2 shown]
	ds_load_b128 v[0:3], v164 offset:4080
	s_waitcnt lgkmcnt(0)
	v_mul_f64 v[12:13], v[241:242], v[2:3]
	v_fma_f64 v[88:89], v[239:240], v[0:1], v[12:13]
	v_mul_f64 v[0:1], v[241:242], v[0:1]
	s_delay_alu instid0(VALU_DEP_1) | instskip(SKIP_3) | instid1(VALU_DEP_1)
	v_fma_f64 v[90:91], v[239:240], v[2:3], -v[0:1]
	ds_load_b128 v[0:3], v164 offset:6256
	s_waitcnt vmcnt(0) lgkmcnt(0)
	v_mul_f64 v[12:13], v[26:27], v[2:3]
	v_fma_f64 v[92:93], v[24:25], v[0:1], v[12:13]
	v_mul_f64 v[0:1], v[26:27], v[0:1]
	v_add_f64 v[12:13], v[4:5], v[8:9]
	v_add_f64 v[26:27], v[18:19], v[22:23]
	s_delay_alu instid0(VALU_DEP_3)
	v_fma_f64 v[94:95], v[24:25], v[2:3], -v[0:1]
	ds_load_b128 v[0:3], v164
	v_add_f64 v[24:25], v[16:17], v[20:21]
	s_waitcnt lgkmcnt(0)
	v_fma_f64 v[14:15], v[14:15], -0.5, v[2:3]
	v_add_f64 v[2:3], v[2:3], v[6:7]
	v_fma_f64 v[12:13], v[12:13], -0.5, v[0:1]
	v_add_f64 v[0:1], v[0:1], v[4:5]
	v_add_f64 v[6:7], v[6:7], -v[10:11]
	s_delay_alu instid0(VALU_DEP_4) | instskip(SKIP_1) | instid1(VALU_DEP_4)
	v_add_f64 v[2:3], v[2:3], v[10:11]
	v_add_f64 v[10:11], v[4:5], -v[8:9]
	v_add_f64 v[0:1], v[0:1], v[8:9]
	s_delay_alu instid0(VALU_DEP_4) | instskip(SKIP_1) | instid1(VALU_DEP_4)
	v_fma_f64 v[4:5], v[6:7], s[0:1], v[12:13]
	v_fma_f64 v[8:9], v[6:7], s[2:3], v[12:13]
	v_fma_f64 v[6:7], v[10:11], s[2:3], v[14:15]
	v_fma_f64 v[10:11], v[10:11], s[0:1], v[14:15]
	ds_load_b128 v[12:15], v164 offset:272
	s_waitcnt lgkmcnt(0)
	v_fma_f64 v[26:27], v[26:27], -0.5, v[14:15]
	v_add_f64 v[14:15], v[14:15], v[18:19]
	v_fma_f64 v[24:25], v[24:25], -0.5, v[12:13]
	v_add_f64 v[12:13], v[12:13], v[16:17]
	v_add_f64 v[18:19], v[18:19], -v[22:23]
	s_delay_alu instid0(VALU_DEP_4) | instskip(SKIP_1) | instid1(VALU_DEP_4)
	v_add_f64 v[14:15], v[14:15], v[22:23]
	v_add_f64 v[22:23], v[16:17], -v[20:21]
	v_add_f64 v[12:13], v[12:13], v[20:21]
	s_delay_alu instid0(VALU_DEP_4) | instskip(SKIP_1) | instid1(VALU_DEP_4)
	v_fma_f64 v[16:17], v[18:19], s[0:1], v[24:25]
	v_fma_f64 v[20:21], v[18:19], s[2:3], v[24:25]
	v_fma_f64 v[18:19], v[22:23], s[2:3], v[26:27]
	v_fma_f64 v[22:23], v[22:23], s[0:1], v[26:27]
	ds_load_b128 v[24:27], v164 offset:544
	;; [unrolled: 16-line block ×3, first 2 shown]
	ds_load_b128 v[40:43], v164 offset:1088
	ds_load_b128 v[44:47], v164 offset:1360
	;; [unrolled: 1-line block ×4, first 2 shown]
	s_waitcnt lgkmcnt(0)
	s_barrier
	buffer_gl0_inv
	ds_store_b128 v164, v[0:3]
	ds_store_b128 v164, v[12:15] offset:816
	ds_store_b128 v164, v[4:7] offset:272
	;; [unrolled: 1-line block ×5, first 2 shown]
	scratch_load_b32 v0, off, off offset:908 ; 4-byte Folded Reload
	v_add_f64 v[8:9], v[58:59], -v[62:63]
	v_add_f64 v[12:13], v[56:57], -v[60:61]
	s_waitcnt vmcnt(0)
	ds_store_b128 v0, v[24:27] offset:1632
	ds_store_b128 v0, v[28:31] offset:1904
	;; [unrolled: 1-line block ×3, first 2 shown]
	v_add_f64 v[0:1], v[56:57], v[60:61]
	v_add_f64 v[4:5], v[36:37], v[56:57]
	s_delay_alu instid0(VALU_DEP_2) | instskip(SKIP_1) | instid1(VALU_DEP_1)
	v_fma_f64 v[6:7], v[0:1], -0.5, v[36:37]
	v_add_f64 v[0:1], v[58:59], v[62:63]
	v_fma_f64 v[10:11], v[0:1], -0.5, v[38:39]
	v_add_f64 v[0:1], v[38:39], v[58:59]
	s_delay_alu instid0(VALU_DEP_1)
	v_add_f64 v[2:3], v[0:1], v[62:63]
	v_add_f64 v[0:1], v[4:5], v[60:61]
	v_fma_f64 v[4:5], v[8:9], s[0:1], v[6:7]
	v_fma_f64 v[8:9], v[8:9], s[2:3], v[6:7]
	;; [unrolled: 1-line block ×4, first 2 shown]
	scratch_load_b32 v12, off, off offset:900 ; 4-byte Folded Reload
	s_waitcnt vmcnt(0)
	ds_store_b128 v12, v[0:3] offset:2448
	ds_store_b128 v12, v[4:7] offset:2720
	ds_store_b128 v12, v[8:11] offset:2992
	v_add_f64 v[0:1], v[64:65], v[68:69]
	v_add_f64 v[4:5], v[40:41], v[64:65]
	v_add_f64 v[8:9], v[66:67], -v[70:71]
	v_add_f64 v[12:13], v[64:65], -v[68:69]
	s_delay_alu instid0(VALU_DEP_4) | instskip(SKIP_1) | instid1(VALU_DEP_1)
	v_fma_f64 v[6:7], v[0:1], -0.5, v[40:41]
	v_add_f64 v[0:1], v[66:67], v[70:71]
	v_fma_f64 v[10:11], v[0:1], -0.5, v[42:43]
	v_add_f64 v[0:1], v[42:43], v[66:67]
	s_delay_alu instid0(VALU_DEP_1)
	v_add_f64 v[2:3], v[0:1], v[70:71]
	v_add_f64 v[0:1], v[4:5], v[68:69]
	v_fma_f64 v[4:5], v[8:9], s[0:1], v[6:7]
	v_fma_f64 v[8:9], v[8:9], s[2:3], v[6:7]
	v_fma_f64 v[6:7], v[12:13], s[2:3], v[10:11]
	v_fma_f64 v[10:11], v[12:13], s[0:1], v[10:11]
	ds_store_b128 v115, v[0:3] offset:3264
	ds_store_b128 v115, v[4:7] offset:3536
	ds_store_b128 v115, v[8:11] offset:3808
	v_add_f64 v[0:1], v[72:73], v[76:77]
	v_add_f64 v[4:5], v[44:45], v[72:73]
	v_add_f64 v[8:9], v[74:75], -v[78:79]
	v_add_f64 v[12:13], v[72:73], -v[76:77]
	s_delay_alu instid0(VALU_DEP_4) | instskip(SKIP_1) | instid1(VALU_DEP_1)
	v_fma_f64 v[6:7], v[0:1], -0.5, v[44:45]
	v_add_f64 v[0:1], v[74:75], v[78:79]
	v_fma_f64 v[10:11], v[0:1], -0.5, v[46:47]
	v_add_f64 v[0:1], v[46:47], v[74:75]
	s_delay_alu instid0(VALU_DEP_1)
	v_add_f64 v[2:3], v[0:1], v[78:79]
	v_add_f64 v[0:1], v[4:5], v[76:77]
	v_fma_f64 v[4:5], v[8:9], s[0:1], v[6:7]
	v_fma_f64 v[8:9], v[8:9], s[2:3], v[6:7]
	v_fma_f64 v[6:7], v[12:13], s[2:3], v[10:11]
	v_fma_f64 v[10:11], v[12:13], s[0:1], v[10:11]
	;; [unrolled: 19-line block ×4, first 2 shown]
	ds_store_b128 v113, v[0:3] offset:5712
	ds_store_b128 v113, v[4:7] offset:5984
	;; [unrolled: 1-line block ×3, first 2 shown]
	s_waitcnt lgkmcnt(0)
	s_barrier
	buffer_gl0_inv
	s_clause 0x6
	scratch_load_b128 v[6:9], off, off offset:564
	scratch_load_b128 v[56:59], off, off offset:596
	;; [unrolled: 1-line block ×7, first 2 shown]
	ds_load_b128 v[2:5], v164 offset:816
	s_clause 0x1
	scratch_load_b128 v[22:25], off, off offset:692
	scratch_load_b128 v[26:29], off, off offset:676
	s_mov_b32 s0, 0x667f3bcd
	s_mov_b32 s1, 0xbfe6a09e
	;; [unrolled: 1-line block ×4, first 2 shown]
	s_clause 0x4
	scratch_load_b128 v[46:49], off, off offset:884
	scratch_load_b128 v[50:53], off, off offset:804
	;; [unrolled: 1-line block ×5, first 2 shown]
	s_waitcnt vmcnt(13) lgkmcnt(0)
	v_mul_f64 v[0:1], v[8:9], v[4:5]
	s_delay_alu instid0(VALU_DEP_1) | instskip(SKIP_1) | instid1(VALU_DEP_1)
	v_fma_f64 v[0:1], v[6:7], v[2:3], v[0:1]
	v_mul_f64 v[2:3], v[8:9], v[2:3]
	v_fma_f64 v[2:3], v[6:7], v[4:5], -v[2:3]
	ds_load_b128 v[6:9], v164 offset:1632
	s_waitcnt vmcnt(11) lgkmcnt(0)
	v_mul_f64 v[4:5], v[12:13], v[8:9]
	s_delay_alu instid0(VALU_DEP_1) | instskip(SKIP_1) | instid1(VALU_DEP_1)
	v_fma_f64 v[4:5], v[10:11], v[6:7], v[4:5]
	v_mul_f64 v[6:7], v[12:13], v[6:7]
	v_fma_f64 v[8:9], v[10:11], v[8:9], -v[6:7]
	ds_load_b128 v[10:13], v164 offset:2448
	;; [unrolled: 7-line block ×5, first 2 shown]
	s_waitcnt vmcnt(5) lgkmcnt(0)
	v_mul_f64 v[20:21], v[28:29], v[24:25]
	s_delay_alu instid0(VALU_DEP_1) | instskip(SKIP_1) | instid1(VALU_DEP_2)
	v_fma_f64 v[20:21], v[26:27], v[22:23], v[20:21]
	v_mul_f64 v[22:23], v[28:29], v[22:23]
	v_add_f64 v[20:21], v[4:5], -v[20:21]
	s_delay_alu instid0(VALU_DEP_2)
	v_fma_f64 v[22:23], v[26:27], v[24:25], -v[22:23]
	ds_load_b128 v[26:29], v164 offset:5712
	s_waitcnt lgkmcnt(0)
	v_mul_f64 v[24:25], v[32:33], v[28:29]
	v_fma_f64 v[4:5], v[4:5], 2.0, -v[20:21]
	v_add_f64 v[22:23], v[8:9], -v[22:23]
	s_delay_alu instid0(VALU_DEP_3) | instskip(SKIP_1) | instid1(VALU_DEP_3)
	v_fma_f64 v[24:25], v[30:31], v[26:27], v[24:25]
	v_mul_f64 v[26:27], v[32:33], v[26:27]
	v_fma_f64 v[8:9], v[8:9], 2.0, -v[22:23]
	s_delay_alu instid0(VALU_DEP_3) | instskip(NEXT) | instid1(VALU_DEP_3)
	v_add_f64 v[24:25], v[6:7], -v[24:25]
	v_fma_f64 v[26:27], v[30:31], v[28:29], -v[26:27]
	ds_load_b128 v[28:31], v164 offset:1088
	s_waitcnt lgkmcnt(0)
	v_mul_f64 v[32:33], v[36:37], v[30:31]
	v_add_f64 v[26:27], v[10:11], -v[26:27]
	s_delay_alu instid0(VALU_DEP_2) | instskip(SKIP_1) | instid1(VALU_DEP_1)
	v_fma_f64 v[64:65], v[34:35], v[28:29], v[32:33]
	v_mul_f64 v[28:29], v[36:37], v[28:29]
	v_fma_f64 v[66:67], v[34:35], v[30:31], -v[28:29]
	scratch_load_b128 v[34:37], off, off offset:772 ; 16-byte Folded Reload
	ds_load_b128 v[28:31], v164 offset:1904
	s_waitcnt vmcnt(0) lgkmcnt(0)
	v_mul_f64 v[32:33], v[36:37], v[30:31]
	s_delay_alu instid0(VALU_DEP_1) | instskip(SKIP_1) | instid1(VALU_DEP_1)
	v_fma_f64 v[68:69], v[34:35], v[28:29], v[32:33]
	v_mul_f64 v[28:29], v[36:37], v[28:29]
	v_fma_f64 v[70:71], v[34:35], v[30:31], -v[28:29]
	scratch_load_b128 v[34:37], off, off offset:820 ; 16-byte Folded Reload
	ds_load_b128 v[28:31], v164 offset:2720
	s_waitcnt vmcnt(0) lgkmcnt(0)
	v_mul_f64 v[32:33], v[36:37], v[30:31]
	s_delay_alu instid0(VALU_DEP_1) | instskip(SKIP_1) | instid1(VALU_DEP_1)
	;; [unrolled: 8-line block ×3, first 2 shown]
	v_fma_f64 v[60:61], v[34:35], v[28:29], v[32:33]
	v_mul_f64 v[28:29], v[36:37], v[28:29]
	v_fma_f64 v[62:63], v[34:35], v[30:31], -v[28:29]
	scratch_load_b128 v[34:37], off, off offset:628 ; 16-byte Folded Reload
	ds_load_b128 v[28:31], v164 offset:5168
	s_waitcnt vmcnt(0) lgkmcnt(0)
	v_mul_f64 v[32:33], v[36:37], v[30:31]
	s_delay_alu instid0(VALU_DEP_1) | instskip(SKIP_1) | instid1(VALU_DEP_2)
	v_fma_f64 v[76:77], v[34:35], v[28:29], v[32:33]
	v_mul_f64 v[28:29], v[36:37], v[28:29]
	v_add_f64 v[76:77], v[68:69], -v[76:77]
	s_delay_alu instid0(VALU_DEP_2) | instskip(SKIP_4) | instid1(VALU_DEP_1)
	v_fma_f64 v[78:79], v[34:35], v[30:31], -v[28:29]
	scratch_load_b128 v[34:37], off, off offset:580 ; 16-byte Folded Reload
	ds_load_b128 v[28:31], v164 offset:4352
	v_fma_f64 v[68:69], v[68:69], 2.0, -v[76:77]
	v_add_f64 v[78:79], v[70:71], -v[78:79]
	v_fma_f64 v[70:71], v[70:71], 2.0, -v[78:79]
	s_waitcnt vmcnt(0) lgkmcnt(0)
	v_mul_f64 v[32:33], v[36:37], v[30:31]
	s_delay_alu instid0(VALU_DEP_1) | instskip(SKIP_1) | instid1(VALU_DEP_2)
	v_fma_f64 v[80:81], v[34:35], v[28:29], v[32:33]
	v_mul_f64 v[28:29], v[36:37], v[28:29]
	v_add_f64 v[80:81], v[64:65], -v[80:81]
	s_delay_alu instid0(VALU_DEP_2)
	v_fma_f64 v[82:83], v[34:35], v[30:31], -v[28:29]
	scratch_load_b128 v[34:37], off, off offset:612 ; 16-byte Folded Reload
	ds_load_b128 v[28:31], v164 offset:5984
	v_add_f64 v[82:83], v[66:67], -v[82:83]
	s_waitcnt vmcnt(0) lgkmcnt(0)
	v_mul_f64 v[32:33], v[36:37], v[30:31]
	s_delay_alu instid0(VALU_DEP_1) | instskip(SKIP_1) | instid1(VALU_DEP_2)
	v_fma_f64 v[84:85], v[34:35], v[28:29], v[32:33]
	v_mul_f64 v[28:29], v[36:37], v[28:29]
	v_add_f64 v[84:85], v[72:73], -v[84:85]
	s_delay_alu instid0(VALU_DEP_2) | instskip(SKIP_4) | instid1(VALU_DEP_1)
	v_fma_f64 v[86:87], v[34:35], v[30:31], -v[28:29]
	scratch_load_b128 v[34:37], off, off offset:644 ; 16-byte Folded Reload
	ds_load_b128 v[30:33], v164 offset:1360
	v_add_f64 v[98:99], v[82:83], -v[84:85]
	v_add_f64 v[86:87], v[74:75], -v[86:87]
	v_add_f64 v[96:97], v[80:81], v[86:87]
	s_waitcnt vmcnt(0) lgkmcnt(0)
	v_mul_f64 v[28:29], v[36:37], v[32:33]
	s_delay_alu instid0(VALU_DEP_1) | instskip(SKIP_1) | instid1(VALU_DEP_1)
	v_fma_f64 v[28:29], v[34:35], v[30:31], v[28:29]
	v_mul_f64 v[30:31], v[36:37], v[30:31]
	v_fma_f64 v[30:31], v[34:35], v[32:33], -v[30:31]
	ds_load_b128 v[34:37], v164 offset:2176
	s_waitcnt lgkmcnt(0)
	v_mul_f64 v[32:33], v[40:41], v[36:37]
	s_delay_alu instid0(VALU_DEP_1) | instskip(SKIP_1) | instid1(VALU_DEP_1)
	v_fma_f64 v[32:33], v[38:39], v[34:35], v[32:33]
	v_mul_f64 v[34:35], v[40:41], v[34:35]
	v_fma_f64 v[34:35], v[38:39], v[36:37], -v[34:35]
	ds_load_b128 v[36:39], v164 offset:3808
	s_waitcnt lgkmcnt(0)
	;; [unrolled: 7-line block ×4, first 2 shown]
	v_mul_f64 v[48:49], v[52:53], v[38:39]
	s_delay_alu instid0(VALU_DEP_1)
	v_fma_f64 v[48:49], v[50:51], v[36:37], v[48:49]
	v_mul_f64 v[36:37], v[52:53], v[36:37]
	ds_load_b128 v[52:55], v164 offset:2992
	v_add_f64 v[48:49], v[28:29], -v[48:49]
	v_fma_f64 v[50:51], v[50:51], v[38:39], -v[36:37]
	s_waitcnt lgkmcnt(0)
	v_mul_f64 v[36:37], v[58:59], v[54:55]
	v_mul_f64 v[38:39], v[58:59], v[52:53]
	s_delay_alu instid0(VALU_DEP_3) | instskip(NEXT) | instid1(VALU_DEP_3)
	v_add_f64 v[50:51], v[30:31], -v[50:51]
	v_fma_f64 v[36:37], v[56:57], v[52:53], v[36:37]
	s_delay_alu instid0(VALU_DEP_3) | instskip(SKIP_3) | instid1(VALU_DEP_1)
	v_fma_f64 v[38:39], v[56:57], v[54:55], -v[38:39]
	ds_load_b128 v[54:57], v164 offset:6256
	s_waitcnt lgkmcnt(0)
	v_mul_f64 v[52:53], v[90:91], v[56:57]
	v_fma_f64 v[52:53], v[88:89], v[54:55], v[52:53]
	v_mul_f64 v[54:55], v[90:91], v[54:55]
	s_delay_alu instid0(VALU_DEP_2) | instskip(NEXT) | instid1(VALU_DEP_2)
	v_add_f64 v[52:53], v[36:37], -v[52:53]
	v_fma_f64 v[54:55], v[88:89], v[56:57], -v[54:55]
	ds_load_b128 v[56:59], v164 offset:272
	s_waitcnt lgkmcnt(0)
	v_add_f64 v[60:61], v[56:57], -v[60:61]
	v_add_f64 v[62:63], v[58:59], -v[62:63]
	;; [unrolled: 1-line block ×3, first 2 shown]
	s_delay_alu instid0(VALU_DEP_3) | instskip(NEXT) | instid1(VALU_DEP_3)
	v_fma_f64 v[88:89], v[56:57], 2.0, -v[60:61]
	v_fma_f64 v[90:91], v[58:59], 2.0, -v[62:63]
	v_add_f64 v[92:93], v[60:61], v[78:79]
	v_add_f64 v[94:95], v[62:63], -v[76:77]
	v_fma_f64 v[76:77], v[64:65], 2.0, -v[80:81]
	v_fma_f64 v[78:79], v[66:67], 2.0, -v[82:83]
	;; [unrolled: 1-line block ×4, first 2 shown]
	v_add_f64 v[72:73], v[88:89], -v[68:69]
	v_add_f64 v[74:75], v[90:91], -v[70:71]
	v_fma_f64 v[56:57], v[96:97], s[2:3], v[92:93]
	v_fma_f64 v[58:59], v[98:99], s[2:3], v[94:95]
	v_fma_f64 v[100:101], v[60:61], 2.0, -v[92:93]
	v_fma_f64 v[102:103], v[62:63], 2.0, -v[94:95]
	;; [unrolled: 1-line block ×4, first 2 shown]
	v_add_f64 v[80:81], v[78:79], -v[64:65]
	v_add_f64 v[82:83], v[76:77], -v[66:67]
	v_fma_f64 v[56:57], v[98:99], s[2:3], v[56:57]
	v_fma_f64 v[58:59], v[96:97], s[0:1], v[58:59]
	;; [unrolled: 1-line block ×4, first 2 shown]
	v_add_f64 v[64:65], v[72:73], v[80:81]
	v_add_f64 v[66:67], v[74:75], -v[82:83]
	s_delay_alu instid0(VALU_DEP_4) | instskip(NEXT) | instid1(VALU_DEP_4)
	v_fma_f64 v[60:61], v[60:61], s[2:3], v[96:97]
	v_fma_f64 v[62:63], v[62:63], s[0:1], v[98:99]
	s_delay_alu instid0(VALU_DEP_4) | instskip(NEXT) | instid1(VALU_DEP_4)
	v_fma_f64 v[68:69], v[72:73], 2.0, -v[64:65]
	v_fma_f64 v[70:71], v[74:75], 2.0, -v[66:67]
	ds_store_b128 v105, v[64:67] offset:4896
	v_fma_f64 v[64:65], v[92:93], 2.0, -v[56:57]
	v_fma_f64 v[66:67], v[94:95], 2.0, -v[58:59]
	ds_store_b128 v105, v[56:59] offset:5712
	ds_store_b128 v105, v[64:67] offset:2448
	v_fma_f64 v[64:65], v[88:89], 2.0, -v[72:73]
	v_fma_f64 v[66:67], v[90:91], 2.0, -v[74:75]
	;; [unrolled: 1-line block ×4, first 2 shown]
	s_delay_alu instid0(VALU_DEP_2) | instskip(NEXT) | instid1(VALU_DEP_2)
	v_add_f64 v[56:57], v[64:65], -v[56:57]
	v_add_f64 v[58:59], v[66:67], -v[58:59]
	s_delay_alu instid0(VALU_DEP_2) | instskip(NEXT) | instid1(VALU_DEP_2)
	v_fma_f64 v[64:65], v[64:65], 2.0, -v[56:57]
	v_fma_f64 v[66:67], v[66:67], 2.0, -v[58:59]
	ds_store_b128 v105, v[56:59] offset:3264
	v_fma_f64 v[56:57], v[100:101], 2.0, -v[60:61]
	v_fma_f64 v[58:59], v[102:103], 2.0, -v[62:63]
	ds_store_b128 v105, v[60:63] offset:4080
	ds_store_b128 v105, v[68:71] offset:1632
	;; [unrolled: 1-line block ×3, first 2 shown]
	ds_load_b128 v[56:59], v164 offset:544
	v_add_f64 v[68:69], v[32:33], -v[44:45]
	v_add_f64 v[70:71], v[34:35], -v[46:47]
	;; [unrolled: 1-line block ×3, first 2 shown]
	v_add_f64 v[44:45], v[48:49], v[54:55]
	s_waitcnt lgkmcnt(0)
	v_add_f64 v[62:63], v[58:59], -v[42:43]
	v_add_f64 v[60:61], v[56:57], -v[40:41]
	v_fma_f64 v[32:33], v[32:33], 2.0, -v[68:69]
	v_fma_f64 v[34:35], v[34:35], 2.0, -v[70:71]
	;; [unrolled: 1-line block ×5, first 2 shown]
	v_add_f64 v[74:75], v[62:63], -v[68:69]
	v_add_f64 v[72:73], v[60:61], v[70:71]
	v_fma_f64 v[56:57], v[56:57], 2.0, -v[60:61]
	v_fma_f64 v[58:59], v[58:59], 2.0, -v[62:63]
	s_delay_alu instid0(VALU_DEP_4) | instskip(NEXT) | instid1(VALU_DEP_4)
	v_fma_f64 v[42:43], v[46:47], s[2:3], v[74:75]
	v_fma_f64 v[40:41], v[44:45], s[2:3], v[72:73]
	v_fma_f64 v[60:61], v[60:61], 2.0, -v[72:73]
	s_delay_alu instid0(VALU_DEP_4)
	v_add_f64 v[38:39], v[58:59], -v[34:35]
	v_fma_f64 v[62:63], v[62:63], 2.0, -v[74:75]
	v_fma_f64 v[42:43], v[44:45], s[0:1], v[42:43]
	v_fma_f64 v[44:45], v[50:51], 2.0, -v[46:47]
	v_fma_f64 v[50:51], v[30:31], 2.0, -v[50:51]
	;; [unrolled: 1-line block ×3, first 2 shown]
	v_add_f64 v[36:37], v[56:57], -v[32:33]
	v_fma_f64 v[40:41], v[46:47], s[2:3], v[40:41]
	v_fma_f64 v[46:47], v[76:77], s[0:1], v[60:61]
	;; [unrolled: 1-line block ×3, first 2 shown]
	v_add_f64 v[52:53], v[50:51], -v[28:29]
	v_add_f64 v[54:55], v[48:49], -v[30:31]
	s_delay_alu instid0(VALU_DEP_4) | instskip(NEXT) | instid1(VALU_DEP_4)
	v_fma_f64 v[44:45], v[44:45], s[2:3], v[46:47]
	v_fma_f64 v[46:47], v[76:77], s[0:1], v[78:79]
	s_delay_alu instid0(VALU_DEP_4) | instskip(NEXT) | instid1(VALU_DEP_4)
	v_add_f64 v[28:29], v[36:37], v[52:53]
	v_add_f64 v[30:31], v[38:39], -v[54:55]
	s_delay_alu instid0(VALU_DEP_2) | instskip(NEXT) | instid1(VALU_DEP_2)
	v_fma_f64 v[32:33], v[36:37], 2.0, -v[28:29]
	v_fma_f64 v[34:35], v[38:39], 2.0, -v[30:31]
	ds_store_b128 v104, v[28:31] offset:4896
	v_fma_f64 v[28:29], v[72:73], 2.0, -v[40:41]
	v_fma_f64 v[30:31], v[74:75], 2.0, -v[42:43]
	ds_store_b128 v104, v[40:43] offset:5712
	ds_store_b128 v104, v[32:35] offset:1632
	;; [unrolled: 1-line block ×3, first 2 shown]
	v_fma_f64 v[32:33], v[56:57], 2.0, -v[36:37]
	v_fma_f64 v[34:35], v[58:59], 2.0, -v[38:39]
	;; [unrolled: 1-line block ×4, first 2 shown]
	v_add_f64 v[40:41], v[0:1], -v[16:17]
	v_add_f64 v[42:43], v[2:3], -v[18:19]
	s_delay_alu instid0(VALU_DEP_4) | instskip(NEXT) | instid1(VALU_DEP_4)
	v_add_f64 v[28:29], v[32:33], -v[28:29]
	v_add_f64 v[30:31], v[34:35], -v[30:31]
	s_delay_alu instid0(VALU_DEP_4) | instskip(NEXT) | instid1(VALU_DEP_4)
	v_add_f64 v[16:17], v[40:41], v[26:27]
	v_add_f64 v[18:19], v[42:43], -v[24:25]
	s_delay_alu instid0(VALU_DEP_4) | instskip(NEXT) | instid1(VALU_DEP_4)
	v_fma_f64 v[32:33], v[32:33], 2.0, -v[28:29]
	v_fma_f64 v[34:35], v[34:35], 2.0, -v[30:31]
	ds_store_b128 v104, v[28:31] offset:3264
	v_fma_f64 v[28:29], v[60:61], 2.0, -v[44:45]
	v_fma_f64 v[30:31], v[62:63], 2.0, -v[46:47]
	ds_store_b128 v104, v[44:47] offset:4080
	ds_store_b128 v104, v[28:31] offset:816
	ds_load_b128 v[28:31], v164
	v_fma_f64 v[48:49], v[40:41], 2.0, -v[16:17]
	s_waitcnt lgkmcnt(0)
	v_add_f64 v[36:37], v[28:29], -v[12:13]
	v_add_f64 v[38:39], v[30:31], -v[14:15]
	s_delay_alu instid0(VALU_DEP_2) | instskip(NEXT) | instid1(VALU_DEP_2)
	v_fma_f64 v[28:29], v[28:29], 2.0, -v[36:37]
	v_fma_f64 v[30:31], v[30:31], 2.0, -v[38:39]
	v_add_f64 v[44:45], v[36:37], v[22:23]
	v_add_f64 v[46:47], v[38:39], -v[20:21]
	v_fma_f64 v[20:21], v[0:1], 2.0, -v[40:41]
	v_fma_f64 v[22:23], v[2:3], 2.0, -v[42:43]
	;; [unrolled: 1-line block ×4, first 2 shown]
	v_add_f64 v[10:11], v[28:29], -v[4:5]
	v_add_f64 v[8:9], v[30:31], -v[8:9]
	v_fma_f64 v[12:13], v[16:17], s[2:3], v[44:45]
	v_fma_f64 v[14:15], v[18:19], s[2:3], v[46:47]
	v_fma_f64 v[36:37], v[36:37], 2.0, -v[44:45]
	v_fma_f64 v[38:39], v[38:39], 2.0, -v[46:47]
	v_add_f64 v[24:25], v[22:23], -v[0:1]
	v_add_f64 v[26:27], v[20:21], -v[2:3]
	v_fma_f64 v[12:13], v[18:19], s[2:3], v[12:13]
	v_fma_f64 v[14:15], v[16:17], s[0:1], v[14:15]
	v_fma_f64 v[16:17], v[42:43], 2.0, -v[18:19]
	v_fma_f64 v[18:19], v[48:49], s[0:1], v[36:37]
	v_add_f64 v[0:1], v[10:11], v[24:25]
	v_add_f64 v[2:3], v[8:9], -v[26:27]
	s_delay_alu instid0(VALU_DEP_4) | instskip(NEXT) | instid1(VALU_DEP_4)
	v_fma_f64 v[50:51], v[16:17], s[0:1], v[38:39]
	v_fma_f64 v[16:17], v[16:17], s[2:3], v[18:19]
	s_delay_alu instid0(VALU_DEP_4) | instskip(NEXT) | instid1(VALU_DEP_4)
	v_fma_f64 v[4:5], v[10:11], 2.0, -v[0:1]
	v_fma_f64 v[6:7], v[8:9], 2.0, -v[2:3]
	ds_store_b128 v164, v[0:3] offset:4896
	v_fma_f64 v[0:1], v[44:45], 2.0, -v[12:13]
	v_fma_f64 v[2:3], v[46:47], 2.0, -v[14:15]
	ds_store_b128 v164, v[12:15] offset:5712
	ds_store_b128 v164, v[4:7] offset:1632
	;; [unrolled: 1-line block ×3, first 2 shown]
	v_fma_f64 v[4:5], v[28:29], 2.0, -v[10:11]
	v_fma_f64 v[6:7], v[30:31], 2.0, -v[8:9]
	;; [unrolled: 1-line block ×4, first 2 shown]
	v_fma_f64 v[18:19], v[48:49], s[0:1], v[50:51]
	s_mov_b32 s2, 0x14141414
	s_mov_b32 s3, 0x3f641414
	s_mul_i32 s1, s5, 24
	s_delay_alu instid0(VALU_DEP_3) | instskip(NEXT) | instid1(VALU_DEP_3)
	v_add_f64 v[0:1], v[4:5], -v[0:1]
	v_add_f64 v[2:3], v[6:7], -v[2:3]
	s_delay_alu instid0(VALU_DEP_2) | instskip(NEXT) | instid1(VALU_DEP_2)
	v_fma_f64 v[4:5], v[4:5], 2.0, -v[0:1]
	v_fma_f64 v[6:7], v[6:7], 2.0, -v[2:3]
	ds_store_b128 v164, v[0:3] offset:3264
	v_fma_f64 v[0:1], v[36:37], 2.0, -v[16:17]
	v_fma_f64 v[2:3], v[38:39], 2.0, -v[18:19]
	ds_store_b128 v164, v[16:19] offset:4080
	ds_store_b128 v164, v[4:7]
	ds_store_b128 v164, v[64:67] offset:272
	ds_store_b128 v164, v[0:3] offset:816
	;; [unrolled: 1-line block ×3, first 2 shown]
	s_waitcnt lgkmcnt(0)
	s_barrier
	buffer_gl0_inv
	s_clause 0x5
	scratch_load_b128 v[6:9], off, off offset:428
	scratch_load_b128 v[10:13], off, off offset:412
	;; [unrolled: 1-line block ×6, first 2 shown]
	ds_load_b128 v[0:3], v164
	s_clause 0xa
	scratch_load_b128 v[26:29], off, off offset:332
	scratch_load_b128 v[46:49], off, off offset:316
	;; [unrolled: 1-line block ×11, first 2 shown]
	s_waitcnt vmcnt(16) lgkmcnt(0)
	v_mul_f64 v[4:5], v[8:9], v[2:3]
	s_delay_alu instid0(VALU_DEP_1) | instskip(SKIP_1) | instid1(VALU_DEP_1)
	v_fma_f64 v[4:5], v[6:7], v[0:1], v[4:5]
	v_mul_f64 v[0:1], v[8:9], v[0:1]
	v_fma_f64 v[6:7], v[6:7], v[2:3], -v[0:1]
	ds_load_b128 v[0:3], v164 offset:384
	s_waitcnt vmcnt(15) lgkmcnt(0)
	v_mul_f64 v[8:9], v[12:13], v[2:3]
	s_delay_alu instid0(VALU_DEP_1) | instskip(SKIP_1) | instid1(VALU_DEP_1)
	v_fma_f64 v[8:9], v[10:11], v[0:1], v[8:9]
	v_mul_f64 v[0:1], v[12:13], v[0:1]
	v_fma_f64 v[10:11], v[10:11], v[2:3], -v[0:1]
	ds_load_b128 v[0:3], v164 offset:768
	;; [unrolled: 7-line block ×6, first 2 shown]
	s_waitcnt lgkmcnt(0)
	v_mul_f64 v[28:29], v[32:33], v[2:3]
	s_delay_alu instid0(VALU_DEP_1) | instskip(SKIP_1) | instid1(VALU_DEP_1)
	v_fma_f64 v[28:29], v[30:31], v[0:1], v[28:29]
	v_mul_f64 v[0:1], v[32:33], v[0:1]
	v_fma_f64 v[30:31], v[30:31], v[2:3], -v[0:1]
	ds_load_b128 v[0:3], v164 offset:2688
	s_waitcnt vmcnt(8) lgkmcnt(0)
	v_mul_f64 v[32:33], v[36:37], v[2:3]
	s_delay_alu instid0(VALU_DEP_1) | instskip(SKIP_1) | instid1(VALU_DEP_1)
	v_fma_f64 v[32:33], v[34:35], v[0:1], v[32:33]
	v_mul_f64 v[0:1], v[36:37], v[0:1]
	v_fma_f64 v[34:35], v[34:35], v[2:3], -v[0:1]
	ds_load_b128 v[0:3], v164 offset:3072
	s_waitcnt vmcnt(7) lgkmcnt(0)
	;; [unrolled: 7-line block ×3, first 2 shown]
	v_mul_f64 v[40:41], v[44:45], v[2:3]
	s_delay_alu instid0(VALU_DEP_1) | instskip(SKIP_1) | instid1(VALU_DEP_1)
	v_fma_f64 v[40:41], v[42:43], v[0:1], v[40:41]
	v_mul_f64 v[0:1], v[44:45], v[0:1]
	v_fma_f64 v[42:43], v[42:43], v[2:3], -v[0:1]
	ds_load_b128 v[0:3], v164 offset:3840
	s_waitcnt lgkmcnt(0)
	v_mul_f64 v[44:45], v[48:49], v[2:3]
	s_delay_alu instid0(VALU_DEP_1) | instskip(SKIP_1) | instid1(VALU_DEP_1)
	v_fma_f64 v[44:45], v[46:47], v[0:1], v[44:45]
	v_mul_f64 v[0:1], v[48:49], v[0:1]
	v_fma_f64 v[46:47], v[46:47], v[2:3], -v[0:1]
	ds_load_b128 v[0:3], v164 offset:4224
	s_waitcnt vmcnt(5) lgkmcnt(0)
	v_mul_f64 v[48:49], v[52:53], v[2:3]
	s_delay_alu instid0(VALU_DEP_1) | instskip(SKIP_1) | instid1(VALU_DEP_1)
	v_fma_f64 v[48:49], v[50:51], v[0:1], v[48:49]
	v_mul_f64 v[0:1], v[52:53], v[0:1]
	v_fma_f64 v[50:51], v[50:51], v[2:3], -v[0:1]
	ds_load_b128 v[0:3], v164 offset:4608
	s_waitcnt vmcnt(4) lgkmcnt(0)
	;; [unrolled: 7-line block ×5, first 2 shown]
	v_mul_f64 v[64:65], v[68:69], v[2:3]
	s_delay_alu instid0(VALU_DEP_1) | instskip(SKIP_1) | instid1(VALU_DEP_1)
	v_fma_f64 v[64:65], v[66:67], v[0:1], v[64:65]
	v_mul_f64 v[0:1], v[68:69], v[0:1]
	v_fma_f64 v[66:67], v[66:67], v[2:3], -v[0:1]
	scratch_load_b64 v[0:1], off, off offset:140 ; 8-byte Folded Reload
	s_waitcnt vmcnt(0)
	v_mov_b32_e32 v3, v0
	s_delay_alu instid0(VALU_DEP_1) | instskip(SKIP_1) | instid1(SALU_CYCLE_1)
	v_mad_u64_u32 v[68:69], null, s6, v3, 0
	s_mul_hi_u32 s6, s4, 24
	s_add_i32 s1, s6, s1
	s_delay_alu instid0(VALU_DEP_1) | instskip(NEXT) | instid1(VALU_DEP_1)
	v_mov_b32_e32 v0, v69
	v_mad_u64_u32 v[1:2], null, s7, v3, v[0:1]
	v_mul_f64 v[2:3], v[6:7], s[2:3]
	s_delay_alu instid0(VALU_DEP_2) | instskip(SKIP_2) | instid1(VALU_DEP_1)
	v_mov_b32_e32 v69, v1
	v_mul_f64 v[0:1], v[4:5], s[2:3]
	v_mad_u64_u32 v[4:5], null, s4, v108, 0
	v_mad_u64_u32 v[6:7], null, s5, v108, v[5:6]
	s_delay_alu instid0(VALU_DEP_1) | instskip(SKIP_1) | instid1(VALU_DEP_2)
	v_mov_b32_e32 v5, v6
	v_lshlrev_b64 v[6:7], 4, v[68:69]
	v_lshlrev_b64 v[4:5], 4, v[4:5]
	s_delay_alu instid0(VALU_DEP_2) | instskip(NEXT) | instid1(VALU_DEP_1)
	v_add_co_u32 v68, s0, s10, v6
	v_add_co_ci_u32_e64 v69, s0, s11, v7, s0
	s_delay_alu instid0(VALU_DEP_2) | instskip(NEXT) | instid1(VALU_DEP_1)
	v_add_co_u32 v4, s0, v68, v4
	v_add_co_ci_u32_e64 v5, s0, v69, v5, s0
	s_mul_i32 s0, s4, 24
	s_delay_alu instid0(SALU_CYCLE_1)
	s_lshl_b64 s[6:7], s[0:1], 4
	s_mul_hi_u32 s1, s4, 0x300
	global_store_b128 v[4:5], v[0:3], off
	v_mul_f64 v[2:3], v[10:11], s[2:3]
	scratch_load_b32 v10, off, off offset:156 ; 4-byte Folded Reload
	v_mul_f64 v[0:1], v[8:9], s[2:3]
	v_add_co_u32 v4, s0, v4, s6
	s_delay_alu instid0(VALU_DEP_1) | instskip(SKIP_4) | instid1(VALU_DEP_1)
	v_add_co_ci_u32_e64 v5, s0, s7, v5, s0
	global_store_b128 v[4:5], v[0:3], off
	v_mul_f64 v[0:1], v[12:13], s[2:3]
	v_mul_f64 v[2:3], v[14:15], s[2:3]
	v_add_co_u32 v4, s0, v4, s6
	v_add_co_ci_u32_e64 v5, s0, s7, v5, s0
	v_mul_f64 v[14:15], v[38:39], s[2:3]
	scratch_load_b32 v38, off, off offset:164 ; 4-byte Folded Reload
	v_mul_f64 v[12:13], v[36:37], s[2:3]
	global_store_b128 v[4:5], v[0:3], off
	v_mul_f64 v[0:1], v[16:17], s[2:3]
	v_mul_f64 v[2:3], v[18:19], s[2:3]
	v_add_co_u32 v4, s0, v4, s6
	s_delay_alu instid0(VALU_DEP_1)
	v_add_co_ci_u32_e64 v5, s0, s7, v5, s0
	v_mul_f64 v[16:17], v[40:41], s[2:3]
	v_mul_f64 v[18:19], v[42:43], s[2:3]
	global_store_b128 v[4:5], v[0:3], off
	v_mul_f64 v[0:1], v[20:21], s[2:3]
	v_mul_f64 v[2:3], v[22:23], s[2:3]
	v_mul_f64 v[20:21], v[44:45], s[2:3]
	v_mul_f64 v[22:23], v[46:47], s[2:3]
	s_waitcnt vmcnt(1)
	v_mad_u64_u32 v[6:7], null, s4, v10, 0
	s_delay_alu instid0(VALU_DEP_1) | instskip(NEXT) | instid1(VALU_DEP_1)
	v_mad_u64_u32 v[8:9], null, s5, v10, v[7:8]
	v_mov_b32_e32 v7, v8
	s_delay_alu instid0(VALU_DEP_1) | instskip(NEXT) | instid1(VALU_DEP_1)
	v_lshlrev_b64 v[6:7], 4, v[6:7]
	v_add_co_u32 v6, s0, v68, v6
	s_delay_alu instid0(VALU_DEP_1) | instskip(SKIP_1) | instid1(SALU_CYCLE_1)
	v_add_co_ci_u32_e64 v7, s0, v69, v7, s0
	s_mul_i32 s0, s5, 0x300
	s_add_i32 s1, s1, s0
	global_store_b128 v[6:7], v[0:3], off
	v_mul_f64 v[0:1], v[24:25], s[2:3]
	v_mul_f64 v[2:3], v[26:27], s[2:3]
	v_add_co_u32 v8, s0, v4, s8
	s_delay_alu instid0(VALU_DEP_1) | instskip(SKIP_2) | instid1(VALU_DEP_1)
	v_add_co_ci_u32_e64 v9, s0, s1, v5, s0
	ds_load_b128 v[4:7], v164 offset:6144
	v_add_co_u32 v26, s0, v8, s6
	v_add_co_ci_u32_e64 v27, s0, s7, v9, s0
	global_store_b128 v[8:9], v[0:3], off
	scratch_load_b32 v1, off, off offset:160 ; 4-byte Folded Reload
	v_mul_f64 v[2:3], v[30:31], s[2:3]
	s_waitcnt lgkmcnt(0)
	v_mul_f64 v[30:31], v[72:73], v[4:5]
	v_mul_f64 v[8:9], v[32:33], s[2:3]
	s_waitcnt vmcnt(0)
	v_mad_u64_u32 v[24:25], null, s4, v1, 0
	s_delay_alu instid0(VALU_DEP_1) | instskip(NEXT) | instid1(VALU_DEP_1)
	v_mov_b32_e32 v0, v25
	v_mad_u64_u32 v[10:11], null, s5, v1, v[0:1]
	v_mul_f64 v[0:1], v[28:29], s[2:3]
	v_mul_f64 v[28:29], v[72:73], v[6:7]
	s_delay_alu instid0(VALU_DEP_3)
	v_mov_b32_e32 v25, v10
	v_mul_f64 v[10:11], v[34:35], s[2:3]
	global_store_b128 v[26:27], v[0:3], off
	v_lshlrev_b64 v[0:1], 4, v[24:25]
	v_add_co_u32 v26, s0, v26, s6
	v_fma_f64 v[24:25], v[70:71], v[4:5], v[28:29]
	v_fma_f64 v[28:29], v[70:71], v[6:7], -v[30:31]
	v_add_co_ci_u32_e64 v27, s0, s7, v27, s0
	v_mad_u64_u32 v[30:31], null, s4, v38, 0
	v_add_co_u32 v32, s0, v68, v0
	s_delay_alu instid0(VALU_DEP_1) | instskip(SKIP_1) | instid1(VALU_DEP_1)
	v_add_co_ci_u32_e64 v33, s0, v69, v1, s0
	v_add_co_u32 v34, s0, v26, s8
	v_add_co_ci_u32_e64 v35, s0, s1, v27, s0
	s_delay_alu instid0(VALU_DEP_4) | instskip(NEXT) | instid1(VALU_DEP_3)
	v_mad_u64_u32 v[36:37], null, s5, v38, v[31:32]
	v_add_co_u32 v37, s0, v34, s6
	s_delay_alu instid0(VALU_DEP_1)
	v_add_co_ci_u32_e64 v38, s0, s7, v35, s0
	global_store_b128 v[26:27], v[8:11], off
	global_store_b128 v[32:33], v[12:15], off
	;; [unrolled: 1-line block ×4, first 2 shown]
	scratch_load_b32 v32, off, off offset:168 ; 4-byte Folded Reload
	v_mul_f64 v[0:1], v[48:49], s[2:3]
	v_mul_f64 v[2:3], v[50:51], s[2:3]
	;; [unrolled: 1-line block ×10, first 2 shown]
	v_mov_b32_e32 v31, v36
	v_mul_f64 v[20:21], v[24:25], s[2:3]
	v_mul_f64 v[22:23], v[28:29], s[2:3]
	s_delay_alu instid0(VALU_DEP_3) | instskip(SKIP_1) | instid1(VALU_DEP_1)
	v_lshlrev_b64 v[24:25], 4, v[30:31]
	v_add_co_u32 v28, s0, v37, s6
	v_add_co_ci_u32_e64 v29, s0, s7, v38, s0
	s_delay_alu instid0(VALU_DEP_3) | instskip(NEXT) | instid1(VALU_DEP_1)
	v_add_co_u32 v24, s0, v68, v24
	v_add_co_ci_u32_e64 v25, s0, v69, v25, s0
	global_store_b128 v[28:29], v[0:3], off
	global_store_b128 v[24:25], v[4:7], off
	v_add_co_u32 v2, s0, v28, s8
	s_delay_alu instid0(VALU_DEP_1) | instskip(NEXT) | instid1(VALU_DEP_2)
	v_add_co_ci_u32_e64 v3, s0, s1, v29, s0
	v_add_co_u32 v4, s0, v2, s6
	s_delay_alu instid0(VALU_DEP_1) | instskip(NEXT) | instid1(VALU_DEP_2)
	v_add_co_ci_u32_e64 v5, s0, s7, v3, s0
	v_add_co_u32 v0, s0, v4, s6
	s_delay_alu instid0(VALU_DEP_1) | instskip(SKIP_2) | instid1(VALU_DEP_1)
	v_add_co_ci_u32_e64 v1, s0, s7, v5, s0
	s_waitcnt vmcnt(0)
	v_mad_u64_u32 v[26:27], null, s4, v32, 0
	v_mad_u64_u32 v[30:31], null, s5, v32, v[27:28]
	s_delay_alu instid0(VALU_DEP_1) | instskip(NEXT) | instid1(VALU_DEP_1)
	v_mov_b32_e32 v27, v30
	v_lshlrev_b64 v[6:7], 4, v[26:27]
	s_delay_alu instid0(VALU_DEP_1) | instskip(NEXT) | instid1(VALU_DEP_1)
	v_add_co_u32 v6, s0, v68, v6
	v_add_co_ci_u32_e64 v7, s0, v69, v7, s0
	global_store_b128 v[2:3], v[8:11], off
	global_store_b128 v[4:5], v[12:15], off
	;; [unrolled: 1-line block ×4, first 2 shown]
	s_and_b32 exec_lo, exec_lo, vcc_lo
	s_cbranch_execz .LBB0_15
; %bb.14:
	scratch_load_b64 v[16:17], off, off offset:148 ; 8-byte Folded Reload
	s_mul_i32 s0, s5, 0xffffea90
	s_delay_alu instid0(SALU_CYCLE_1)
	s_sub_i32 s0, s0, s4
	s_waitcnt vmcnt(0)
	global_load_b128 v[2:5], v[16:17], off offset:272
	ds_load_b128 v[6:9], v164 offset:272
	ds_load_b128 v[10:13], v164 offset:656
	s_waitcnt vmcnt(0) lgkmcnt(1)
	v_mul_f64 v[14:15], v[8:9], v[4:5]
	v_mul_f64 v[4:5], v[6:7], v[4:5]
	s_delay_alu instid0(VALU_DEP_2) | instskip(NEXT) | instid1(VALU_DEP_2)
	v_fma_f64 v[6:7], v[6:7], v[2:3], v[14:15]
	v_fma_f64 v[4:5], v[2:3], v[8:9], -v[4:5]
	s_delay_alu instid0(VALU_DEP_2) | instskip(NEXT) | instid1(VALU_DEP_2)
	v_mul_f64 v[2:3], v[6:7], s[2:3]
	v_mul_f64 v[4:5], v[4:5], s[2:3]
	v_mad_u64_u32 v[6:7], null, 0xffffea90, s4, v[0:1]
	s_delay_alu instid0(VALU_DEP_1)
	v_add_nc_u32_e32 v7, s0, v7
	global_store_b128 v[6:7], v[2:5], off
	global_load_b128 v[0:3], v[16:17], off offset:656
	s_waitcnt vmcnt(0) lgkmcnt(0)
	v_mul_f64 v[4:5], v[12:13], v[2:3]
	v_mul_f64 v[2:3], v[10:11], v[2:3]
	s_delay_alu instid0(VALU_DEP_2) | instskip(NEXT) | instid1(VALU_DEP_2)
	v_fma_f64 v[4:5], v[10:11], v[0:1], v[4:5]
	v_fma_f64 v[2:3], v[0:1], v[12:13], -v[2:3]
	v_add_co_u32 v12, vcc_lo, v6, s6
	v_add_co_ci_u32_e32 v13, vcc_lo, s7, v7, vcc_lo
	s_delay_alu instid0(VALU_DEP_4) | instskip(NEXT) | instid1(VALU_DEP_4)
	v_mul_f64 v[0:1], v[4:5], s[2:3]
	v_mul_f64 v[2:3], v[2:3], s[2:3]
	global_store_b128 v[12:13], v[0:3], off
	global_load_b128 v[0:3], v[16:17], off offset:1040
	ds_load_b128 v[4:7], v164 offset:1040
	ds_load_b128 v[8:11], v164 offset:1424
	s_waitcnt vmcnt(0) lgkmcnt(1)
	v_mul_f64 v[14:15], v[6:7], v[2:3]
	v_mul_f64 v[2:3], v[4:5], v[2:3]
	s_delay_alu instid0(VALU_DEP_2) | instskip(NEXT) | instid1(VALU_DEP_2)
	v_fma_f64 v[4:5], v[4:5], v[0:1], v[14:15]
	v_fma_f64 v[2:3], v[0:1], v[6:7], -v[2:3]
	s_delay_alu instid0(VALU_DEP_2) | instskip(NEXT) | instid1(VALU_DEP_2)
	v_mul_f64 v[0:1], v[4:5], s[2:3]
	v_mul_f64 v[2:3], v[2:3], s[2:3]
	v_add_co_u32 v4, vcc_lo, v12, s6
	v_add_co_ci_u32_e32 v5, vcc_lo, s7, v13, vcc_lo
	s_delay_alu instid0(VALU_DEP_2) | instskip(NEXT) | instid1(VALU_DEP_2)
	v_add_co_u32 v12, vcc_lo, v4, s6
	v_add_co_ci_u32_e32 v13, vcc_lo, s7, v5, vcc_lo
	global_store_b128 v[4:5], v[0:3], off
	global_load_b128 v[0:3], v[16:17], off offset:1424
	s_waitcnt vmcnt(0) lgkmcnt(0)
	v_mul_f64 v[6:7], v[10:11], v[2:3]
	v_mul_f64 v[2:3], v[8:9], v[2:3]
	s_delay_alu instid0(VALU_DEP_2) | instskip(NEXT) | instid1(VALU_DEP_2)
	v_fma_f64 v[6:7], v[8:9], v[0:1], v[6:7]
	v_fma_f64 v[2:3], v[0:1], v[10:11], -v[2:3]
	s_delay_alu instid0(VALU_DEP_2) | instskip(NEXT) | instid1(VALU_DEP_2)
	v_mul_f64 v[0:1], v[6:7], s[2:3]
	v_mul_f64 v[2:3], v[2:3], s[2:3]
	global_store_b128 v[12:13], v[0:3], off
	global_load_b128 v[0:3], v[16:17], off offset:1808
	ds_load_b128 v[4:7], v164 offset:1808
	ds_load_b128 v[8:11], v164 offset:2192
	s_waitcnt vmcnt(0) lgkmcnt(1)
	v_mul_f64 v[14:15], v[6:7], v[2:3]
	v_mul_f64 v[2:3], v[4:5], v[2:3]
	s_delay_alu instid0(VALU_DEP_2) | instskip(NEXT) | instid1(VALU_DEP_2)
	v_fma_f64 v[4:5], v[4:5], v[0:1], v[14:15]
	v_fma_f64 v[2:3], v[0:1], v[6:7], -v[2:3]
	s_delay_alu instid0(VALU_DEP_2) | instskip(NEXT) | instid1(VALU_DEP_2)
	v_mul_f64 v[0:1], v[4:5], s[2:3]
	v_mul_f64 v[2:3], v[2:3], s[2:3]
	v_add_co_u32 v4, vcc_lo, v12, s6
	v_add_co_ci_u32_e32 v5, vcc_lo, s7, v13, vcc_lo
	s_delay_alu instid0(VALU_DEP_2) | instskip(NEXT) | instid1(VALU_DEP_2)
	v_add_co_u32 v12, vcc_lo, v4, s6
	v_add_co_ci_u32_e32 v13, vcc_lo, s7, v5, vcc_lo
	global_store_b128 v[4:5], v[0:3], off
	global_load_b128 v[0:3], v[16:17], off offset:2192
	s_waitcnt vmcnt(0) lgkmcnt(0)
	v_mul_f64 v[6:7], v[10:11], v[2:3]
	v_mul_f64 v[2:3], v[8:9], v[2:3]
	s_delay_alu instid0(VALU_DEP_2) | instskip(NEXT) | instid1(VALU_DEP_2)
	v_fma_f64 v[6:7], v[8:9], v[0:1], v[6:7]
	v_fma_f64 v[2:3], v[0:1], v[10:11], -v[2:3]
	s_delay_alu instid0(VALU_DEP_2) | instskip(NEXT) | instid1(VALU_DEP_2)
	;; [unrolled: 29-line block ×3, first 2 shown]
	v_mul_f64 v[0:1], v[6:7], s[2:3]
	v_mul_f64 v[2:3], v[2:3], s[2:3]
	global_store_b128 v[12:13], v[0:3], off
	global_load_b128 v[0:3], v[16:17], off offset:3344
	ds_load_b128 v[4:7], v164 offset:3344
	ds_load_b128 v[8:11], v164 offset:3728
	s_waitcnt vmcnt(0) lgkmcnt(1)
	v_mul_f64 v[14:15], v[6:7], v[2:3]
	v_mul_f64 v[2:3], v[4:5], v[2:3]
	s_delay_alu instid0(VALU_DEP_2) | instskip(NEXT) | instid1(VALU_DEP_2)
	v_fma_f64 v[4:5], v[4:5], v[0:1], v[14:15]
	v_fma_f64 v[2:3], v[0:1], v[6:7], -v[2:3]
	s_delay_alu instid0(VALU_DEP_2) | instskip(NEXT) | instid1(VALU_DEP_2)
	v_mul_f64 v[0:1], v[4:5], s[2:3]
	v_mul_f64 v[2:3], v[2:3], s[2:3]
	v_add_co_u32 v4, vcc_lo, v12, s6
	v_add_co_ci_u32_e32 v5, vcc_lo, s7, v13, vcc_lo
	s_delay_alu instid0(VALU_DEP_2) | instskip(NEXT) | instid1(VALU_DEP_2)
	v_add_co_u32 v12, vcc_lo, v4, s6
	v_add_co_ci_u32_e32 v13, vcc_lo, s7, v5, vcc_lo
	global_store_b128 v[4:5], v[0:3], off
	global_load_b128 v[0:3], v[16:17], off offset:3728
	scratch_load_b64 v[16:17], off, off offset:132 ; 8-byte Folded Reload
	s_waitcnt vmcnt(1) lgkmcnt(0)
	v_mul_f64 v[6:7], v[10:11], v[2:3]
	v_mul_f64 v[2:3], v[8:9], v[2:3]
	s_delay_alu instid0(VALU_DEP_2) | instskip(NEXT) | instid1(VALU_DEP_2)
	v_fma_f64 v[6:7], v[8:9], v[0:1], v[6:7]
	v_fma_f64 v[2:3], v[0:1], v[10:11], -v[2:3]
	s_delay_alu instid0(VALU_DEP_2) | instskip(NEXT) | instid1(VALU_DEP_2)
	v_mul_f64 v[0:1], v[6:7], s[2:3]
	v_mul_f64 v[2:3], v[2:3], s[2:3]
	global_store_b128 v[12:13], v[0:3], off
	s_waitcnt vmcnt(0)
	global_load_b128 v[0:3], v[16:17], off offset:16
	ds_load_b128 v[4:7], v164 offset:4112
	ds_load_b128 v[8:11], v164 offset:4496
	s_waitcnt vmcnt(0) lgkmcnt(1)
	v_mul_f64 v[14:15], v[6:7], v[2:3]
	v_mul_f64 v[2:3], v[4:5], v[2:3]
	s_delay_alu instid0(VALU_DEP_2) | instskip(NEXT) | instid1(VALU_DEP_2)
	v_fma_f64 v[4:5], v[4:5], v[0:1], v[14:15]
	v_fma_f64 v[2:3], v[0:1], v[6:7], -v[2:3]
	s_delay_alu instid0(VALU_DEP_2) | instskip(NEXT) | instid1(VALU_DEP_2)
	v_mul_f64 v[0:1], v[4:5], s[2:3]
	v_mul_f64 v[2:3], v[2:3], s[2:3]
	v_add_co_u32 v4, vcc_lo, v12, s6
	v_add_co_ci_u32_e32 v5, vcc_lo, s7, v13, vcc_lo
	s_delay_alu instid0(VALU_DEP_2) | instskip(NEXT) | instid1(VALU_DEP_2)
	v_add_co_u32 v12, vcc_lo, v4, s6
	v_add_co_ci_u32_e32 v13, vcc_lo, s7, v5, vcc_lo
	global_store_b128 v[4:5], v[0:3], off
	global_load_b128 v[0:3], v[16:17], off offset:400
	s_waitcnt vmcnt(0) lgkmcnt(0)
	v_mul_f64 v[6:7], v[10:11], v[2:3]
	v_mul_f64 v[2:3], v[8:9], v[2:3]
	s_delay_alu instid0(VALU_DEP_2) | instskip(NEXT) | instid1(VALU_DEP_2)
	v_fma_f64 v[6:7], v[8:9], v[0:1], v[6:7]
	v_fma_f64 v[2:3], v[0:1], v[10:11], -v[2:3]
	s_delay_alu instid0(VALU_DEP_2) | instskip(NEXT) | instid1(VALU_DEP_2)
	v_mul_f64 v[0:1], v[6:7], s[2:3]
	v_mul_f64 v[2:3], v[2:3], s[2:3]
	global_store_b128 v[12:13], v[0:3], off
	global_load_b128 v[0:3], v[16:17], off offset:784
	ds_load_b128 v[4:7], v164 offset:4880
	ds_load_b128 v[8:11], v164 offset:5264
	s_waitcnt vmcnt(0) lgkmcnt(1)
	v_mul_f64 v[14:15], v[6:7], v[2:3]
	v_mul_f64 v[2:3], v[4:5], v[2:3]
	s_delay_alu instid0(VALU_DEP_2) | instskip(NEXT) | instid1(VALU_DEP_2)
	v_fma_f64 v[4:5], v[4:5], v[0:1], v[14:15]
	v_fma_f64 v[2:3], v[0:1], v[6:7], -v[2:3]
	s_delay_alu instid0(VALU_DEP_2) | instskip(NEXT) | instid1(VALU_DEP_2)
	v_mul_f64 v[0:1], v[4:5], s[2:3]
	v_mul_f64 v[2:3], v[2:3], s[2:3]
	v_add_co_u32 v4, vcc_lo, v12, s6
	v_add_co_ci_u32_e32 v5, vcc_lo, s7, v13, vcc_lo
	s_delay_alu instid0(VALU_DEP_2) | instskip(NEXT) | instid1(VALU_DEP_2)
	v_add_co_u32 v12, vcc_lo, v4, s6
	v_add_co_ci_u32_e32 v13, vcc_lo, s7, v5, vcc_lo
	global_store_b128 v[4:5], v[0:3], off
	global_load_b128 v[0:3], v[16:17], off offset:1168
	s_waitcnt vmcnt(0) lgkmcnt(0)
	v_mul_f64 v[6:7], v[10:11], v[2:3]
	v_mul_f64 v[2:3], v[8:9], v[2:3]
	s_delay_alu instid0(VALU_DEP_2) | instskip(NEXT) | instid1(VALU_DEP_2)
	v_fma_f64 v[6:7], v[8:9], v[0:1], v[6:7]
	v_fma_f64 v[2:3], v[0:1], v[10:11], -v[2:3]
	s_delay_alu instid0(VALU_DEP_2) | instskip(NEXT) | instid1(VALU_DEP_2)
	v_mul_f64 v[0:1], v[6:7], s[2:3]
	v_mul_f64 v[2:3], v[2:3], s[2:3]
	global_store_b128 v[12:13], v[0:3], off
	global_load_b128 v[0:3], v[16:17], off offset:1552
	ds_load_b128 v[4:7], v164 offset:5648
	ds_load_b128 v[8:11], v164 offset:6032
	s_waitcnt vmcnt(0) lgkmcnt(1)
	v_mul_f64 v[14:15], v[6:7], v[2:3]
	v_mul_f64 v[2:3], v[4:5], v[2:3]
	s_delay_alu instid0(VALU_DEP_2) | instskip(NEXT) | instid1(VALU_DEP_2)
	v_fma_f64 v[4:5], v[4:5], v[0:1], v[14:15]
	v_fma_f64 v[2:3], v[0:1], v[6:7], -v[2:3]
	s_delay_alu instid0(VALU_DEP_2) | instskip(NEXT) | instid1(VALU_DEP_2)
	v_mul_f64 v[0:1], v[4:5], s[2:3]
	v_mul_f64 v[2:3], v[2:3], s[2:3]
	v_add_co_u32 v4, vcc_lo, v12, s6
	v_add_co_ci_u32_e32 v5, vcc_lo, s7, v13, vcc_lo
	global_store_b128 v[4:5], v[0:3], off
	global_load_b128 v[0:3], v[16:17], off offset:1936
	s_waitcnt vmcnt(0) lgkmcnt(0)
	v_mul_f64 v[6:7], v[10:11], v[2:3]
	v_mul_f64 v[2:3], v[8:9], v[2:3]
	s_delay_alu instid0(VALU_DEP_2) | instskip(NEXT) | instid1(VALU_DEP_2)
	v_fma_f64 v[6:7], v[8:9], v[0:1], v[6:7]
	v_fma_f64 v[2:3], v[0:1], v[10:11], -v[2:3]
	v_add_co_u32 v8, vcc_lo, v4, s6
	v_add_co_ci_u32_e32 v9, vcc_lo, s7, v5, vcc_lo
	s_delay_alu instid0(VALU_DEP_4) | instskip(NEXT) | instid1(VALU_DEP_4)
	v_mul_f64 v[0:1], v[6:7], s[2:3]
	v_mul_f64 v[2:3], v[2:3], s[2:3]
	ds_load_b128 v[4:7], v164 offset:6416
	global_store_b128 v[8:9], v[0:3], off
	global_load_b128 v[0:3], v[16:17], off offset:2320
	s_waitcnt vmcnt(0) lgkmcnt(0)
	v_mul_f64 v[10:11], v[6:7], v[2:3]
	v_mul_f64 v[2:3], v[4:5], v[2:3]
	s_delay_alu instid0(VALU_DEP_2) | instskip(NEXT) | instid1(VALU_DEP_2)
	v_fma_f64 v[4:5], v[4:5], v[0:1], v[10:11]
	v_fma_f64 v[2:3], v[0:1], v[6:7], -v[2:3]
	s_delay_alu instid0(VALU_DEP_2) | instskip(NEXT) | instid1(VALU_DEP_2)
	v_mul_f64 v[0:1], v[4:5], s[2:3]
	v_mul_f64 v[2:3], v[2:3], s[2:3]
	v_add_co_u32 v4, vcc_lo, v8, s6
	v_add_co_ci_u32_e32 v5, vcc_lo, s7, v9, vcc_lo
	global_store_b128 v[4:5], v[0:3], off
.LBB0_15:
	s_nop 0
	s_sendmsg sendmsg(MSG_DEALLOC_VGPRS)
	s_endpgm
	.section	.rodata,"a",@progbits
	.p2align	6, 0x0
	.amdhsa_kernel bluestein_single_back_len408_dim1_dp_op_CI_CI
		.amdhsa_group_segment_fixed_size 19584
		.amdhsa_private_segment_fixed_size 1256
		.amdhsa_kernarg_size 104
		.amdhsa_user_sgpr_count 15
		.amdhsa_user_sgpr_dispatch_ptr 0
		.amdhsa_user_sgpr_queue_ptr 0
		.amdhsa_user_sgpr_kernarg_segment_ptr 1
		.amdhsa_user_sgpr_dispatch_id 0
		.amdhsa_user_sgpr_private_segment_size 0
		.amdhsa_wavefront_size32 1
		.amdhsa_uses_dynamic_stack 0
		.amdhsa_enable_private_segment 1
		.amdhsa_system_sgpr_workgroup_id_x 1
		.amdhsa_system_sgpr_workgroup_id_y 0
		.amdhsa_system_sgpr_workgroup_id_z 0
		.amdhsa_system_sgpr_workgroup_info 0
		.amdhsa_system_vgpr_workitem_id 0
		.amdhsa_next_free_vgpr 256
		.amdhsa_next_free_sgpr 60
		.amdhsa_reserve_vcc 1
		.amdhsa_float_round_mode_32 0
		.amdhsa_float_round_mode_16_64 0
		.amdhsa_float_denorm_mode_32 3
		.amdhsa_float_denorm_mode_16_64 3
		.amdhsa_dx10_clamp 1
		.amdhsa_ieee_mode 1
		.amdhsa_fp16_overflow 0
		.amdhsa_workgroup_processor_mode 1
		.amdhsa_memory_ordered 1
		.amdhsa_forward_progress 0
		.amdhsa_shared_vgpr_count 0
		.amdhsa_exception_fp_ieee_invalid_op 0
		.amdhsa_exception_fp_denorm_src 0
		.amdhsa_exception_fp_ieee_div_zero 0
		.amdhsa_exception_fp_ieee_overflow 0
		.amdhsa_exception_fp_ieee_underflow 0
		.amdhsa_exception_fp_ieee_inexact 0
		.amdhsa_exception_int_div_zero 0
	.end_amdhsa_kernel
	.text
.Lfunc_end0:
	.size	bluestein_single_back_len408_dim1_dp_op_CI_CI, .Lfunc_end0-bluestein_single_back_len408_dim1_dp_op_CI_CI
                                        ; -- End function
	.section	.AMDGPU.csdata,"",@progbits
; Kernel info:
; codeLenInByte = 49876
; NumSgprs: 62
; NumVgprs: 256
; ScratchSize: 1256
; MemoryBound: 0
; FloatMode: 240
; IeeeMode: 1
; LDSByteSize: 19584 bytes/workgroup (compile time only)
; SGPRBlocks: 7
; VGPRBlocks: 31
; NumSGPRsForWavesPerEU: 62
; NumVGPRsForWavesPerEU: 256
; Occupancy: 3
; WaveLimiterHint : 1
; COMPUTE_PGM_RSRC2:SCRATCH_EN: 1
; COMPUTE_PGM_RSRC2:USER_SGPR: 15
; COMPUTE_PGM_RSRC2:TRAP_HANDLER: 0
; COMPUTE_PGM_RSRC2:TGID_X_EN: 1
; COMPUTE_PGM_RSRC2:TGID_Y_EN: 0
; COMPUTE_PGM_RSRC2:TGID_Z_EN: 0
; COMPUTE_PGM_RSRC2:TIDIG_COMP_CNT: 0
	.text
	.p2alignl 7, 3214868480
	.fill 96, 4, 3214868480
	.type	__hip_cuid_c20d379fbacbdcfc,@object ; @__hip_cuid_c20d379fbacbdcfc
	.section	.bss,"aw",@nobits
	.globl	__hip_cuid_c20d379fbacbdcfc
__hip_cuid_c20d379fbacbdcfc:
	.byte	0                               ; 0x0
	.size	__hip_cuid_c20d379fbacbdcfc, 1

	.ident	"AMD clang version 19.0.0git (https://github.com/RadeonOpenCompute/llvm-project roc-6.4.0 25133 c7fe45cf4b819c5991fe208aaa96edf142730f1d)"
	.section	".note.GNU-stack","",@progbits
	.addrsig
	.addrsig_sym __hip_cuid_c20d379fbacbdcfc
	.amdgpu_metadata
---
amdhsa.kernels:
  - .args:
      - .actual_access:  read_only
        .address_space:  global
        .offset:         0
        .size:           8
        .value_kind:     global_buffer
      - .actual_access:  read_only
        .address_space:  global
        .offset:         8
        .size:           8
        .value_kind:     global_buffer
      - .actual_access:  read_only
        .address_space:  global
        .offset:         16
        .size:           8
        .value_kind:     global_buffer
      - .actual_access:  read_only
        .address_space:  global
        .offset:         24
        .size:           8
        .value_kind:     global_buffer
      - .actual_access:  read_only
        .address_space:  global
        .offset:         32
        .size:           8
        .value_kind:     global_buffer
      - .offset:         40
        .size:           8
        .value_kind:     by_value
      - .address_space:  global
        .offset:         48
        .size:           8
        .value_kind:     global_buffer
      - .address_space:  global
        .offset:         56
        .size:           8
        .value_kind:     global_buffer
      - .address_space:  global
        .offset:         64
        .size:           8
        .value_kind:     global_buffer
      - .address_space:  global
        .offset:         72
        .size:           8
        .value_kind:     global_buffer
      - .offset:         80
        .size:           4
        .value_kind:     by_value
      - .address_space:  global
        .offset:         88
        .size:           8
        .value_kind:     global_buffer
      - .address_space:  global
        .offset:         96
        .size:           8
        .value_kind:     global_buffer
    .group_segment_fixed_size: 19584
    .kernarg_segment_align: 8
    .kernarg_segment_size: 104
    .language:       OpenCL C
    .language_version:
      - 2
      - 0
    .max_flat_workgroup_size: 51
    .name:           bluestein_single_back_len408_dim1_dp_op_CI_CI
    .private_segment_fixed_size: 1256
    .sgpr_count:     62
    .sgpr_spill_count: 0
    .symbol:         bluestein_single_back_len408_dim1_dp_op_CI_CI.kd
    .uniform_work_group_size: 1
    .uses_dynamic_stack: false
    .vgpr_count:     256
    .vgpr_spill_count: 466
    .wavefront_size: 32
    .workgroup_processor_mode: 1
amdhsa.target:   amdgcn-amd-amdhsa--gfx1100
amdhsa.version:
  - 1
  - 2
...

	.end_amdgpu_metadata
